;; amdgpu-corpus repo=ROCm/rocSPARSE kind=compiled arch=gfx1100 opt=O3
	.text
	.amdgcn_target "amdgcn-amd-amdhsa--gfx1100"
	.amdhsa_code_object_version 6
	.section	.text._ZN9rocsparseL23sddmm_ell_sample_kernelILi16ELi32EDF16_iDF16_EEvT2_S1_PKT3_lS1_PS2_PKS1_21rocsparse_index_base_,"axG",@progbits,_ZN9rocsparseL23sddmm_ell_sample_kernelILi16ELi32EDF16_iDF16_EEvT2_S1_PKT3_lS1_PS2_PKS1_21rocsparse_index_base_,comdat
	.globl	_ZN9rocsparseL23sddmm_ell_sample_kernelILi16ELi32EDF16_iDF16_EEvT2_S1_PKT3_lS1_PS2_PKS1_21rocsparse_index_base_ ; -- Begin function _ZN9rocsparseL23sddmm_ell_sample_kernelILi16ELi32EDF16_iDF16_EEvT2_S1_PKT3_lS1_PS2_PKS1_21rocsparse_index_base_
	.p2align	8
	.type	_ZN9rocsparseL23sddmm_ell_sample_kernelILi16ELi32EDF16_iDF16_EEvT2_S1_PKT3_lS1_PS2_PKS1_21rocsparse_index_base_,@function
_ZN9rocsparseL23sddmm_ell_sample_kernelILi16ELi32EDF16_iDF16_EEvT2_S1_PKT3_lS1_PS2_PKS1_21rocsparse_index_base_: ; @_ZN9rocsparseL23sddmm_ell_sample_kernelILi16ELi32EDF16_iDF16_EEvT2_S1_PKT3_lS1_PS2_PKS1_21rocsparse_index_base_
; %bb.0:
	s_load_b32 s2, s[0:1], 0x18
	v_lshrrev_b32_e32 v1, 5, v0
	s_delay_alu instid0(VALU_DEP_1) | instskip(SKIP_1) | instid1(VALU_DEP_1)
	v_lshl_or_b32 v1, s15, 4, v1
	s_waitcnt lgkmcnt(0)
	v_cmp_gt_u32_e32 vcc_lo, s2, v1
	s_and_saveexec_b32 s2, vcc_lo
	s_cbranch_execz .LBB0_6
; %bb.1:
	s_load_b64 s[2:3], s[0:1], 0x0
	v_and_b32_e32 v4, 31, v0
	s_waitcnt lgkmcnt(0)
	s_delay_alu instid0(VALU_DEP_1)
	v_cmp_gt_i32_e32 vcc_lo, s2, v4
	s_and_b32 exec_lo, exec_lo, vcc_lo
	s_cbranch_execz .LBB0_6
; %bb.2:
	s_clause 0x2
	s_load_b128 s[8:11], s[0:1], 0x8
	s_load_b128 s[4:7], s[0:1], 0x20
	s_load_b32 s1, s[0:1], 0x30
	v_and_b32_e32 v0, 31, v0
	v_mul_lo_u32 v5, v1, s2
	s_delay_alu instid0(VALU_DEP_2) | instskip(SKIP_1) | instid1(VALU_DEP_1)
	v_dual_mov_b32 v1, 0 :: v_dual_lshlrev_b32 v0, 1, v0
	s_waitcnt lgkmcnt(0)
	v_add_co_u32 v2, s0, s8, v0
	s_delay_alu instid0(VALU_DEP_1)
	v_add_co_ci_u32_e64 v3, null, s9, 0, s0
	s_lshl_b64 s[8:9], s[10:11], 1
	s_mov_b32 s10, 0
	s_set_inst_prefetch_distance 0x1
	s_branch .LBB0_4
	.p2align	6
.LBB0_3:                                ;   in Loop: Header=BB0_4 Depth=1
	s_or_b32 exec_lo, exec_lo, s0
	v_add_nc_u32_e32 v4, 32, v4
	v_add_co_u32 v2, s0, v2, 64
	s_delay_alu instid0(VALU_DEP_1) | instskip(NEXT) | instid1(VALU_DEP_3)
	v_add_co_ci_u32_e64 v3, s0, 0, v3, s0
	v_cmp_le_i32_e32 vcc_lo, s2, v4
	s_or_b32 s10, vcc_lo, s10
	s_delay_alu instid0(SALU_CYCLE_1)
	s_and_not1_b32 exec_lo, exec_lo, s10
	s_cbranch_execz .LBB0_6
.LBB0_4:                                ; =>This Inner Loop Header: Depth=1
	v_add_nc_u32_e32 v0, v5, v4
	s_delay_alu instid0(VALU_DEP_1) | instskip(NEXT) | instid1(VALU_DEP_1)
	v_lshlrev_b64 v[6:7], 2, v[0:1]
	v_add_co_u32 v6, vcc_lo, s6, v6
	s_delay_alu instid0(VALU_DEP_2) | instskip(SKIP_3) | instid1(VALU_DEP_1)
	v_add_co_ci_u32_e32 v7, vcc_lo, s7, v7, vcc_lo
	global_load_b32 v6, v[6:7], off
	s_waitcnt vmcnt(0)
	v_subrev_nc_u32_e32 v6, s1, v6
	v_cmp_lt_i32_e32 vcc_lo, -1, v6
	v_cmp_gt_i32_e64 s0, s3, v6
	s_delay_alu instid0(VALU_DEP_1) | instskip(NEXT) | instid1(SALU_CYCLE_1)
	s_and_b32 s11, vcc_lo, s0
	s_and_saveexec_b32 s0, s11
	s_cbranch_execz .LBB0_3
; %bb.5:                                ;   in Loop: Header=BB0_4 Depth=1
	v_mad_u64_u32 v[7:8], null, s8, v6, v[2:3]
	s_delay_alu instid0(VALU_DEP_1) | instskip(NEXT) | instid1(VALU_DEP_1)
	v_mad_u64_u32 v[9:10], null, s9, v6, v[8:9]
	v_mov_b32_e32 v8, v9
	global_load_u16 v8, v[7:8], off
	v_lshlrev_b64 v[6:7], 1, v[0:1]
	s_delay_alu instid0(VALU_DEP_1) | instskip(NEXT) | instid1(VALU_DEP_2)
	v_add_co_u32 v6, vcc_lo, s4, v6
	v_add_co_ci_u32_e32 v7, vcc_lo, s5, v7, vcc_lo
	s_waitcnt vmcnt(0)
	global_store_b16 v[6:7], v8, off
	s_branch .LBB0_3
.LBB0_6:
	s_set_inst_prefetch_distance 0x2
	s_nop 0
	s_sendmsg sendmsg(MSG_DEALLOC_VGPRS)
	s_endpgm
	.section	.rodata,"a",@progbits
	.p2align	6, 0x0
	.amdhsa_kernel _ZN9rocsparseL23sddmm_ell_sample_kernelILi16ELi32EDF16_iDF16_EEvT2_S1_PKT3_lS1_PS2_PKS1_21rocsparse_index_base_
		.amdhsa_group_segment_fixed_size 0
		.amdhsa_private_segment_fixed_size 0
		.amdhsa_kernarg_size 52
		.amdhsa_user_sgpr_count 15
		.amdhsa_user_sgpr_dispatch_ptr 0
		.amdhsa_user_sgpr_queue_ptr 0
		.amdhsa_user_sgpr_kernarg_segment_ptr 1
		.amdhsa_user_sgpr_dispatch_id 0
		.amdhsa_user_sgpr_private_segment_size 0
		.amdhsa_wavefront_size32 1
		.amdhsa_uses_dynamic_stack 0
		.amdhsa_enable_private_segment 0
		.amdhsa_system_sgpr_workgroup_id_x 1
		.amdhsa_system_sgpr_workgroup_id_y 0
		.amdhsa_system_sgpr_workgroup_id_z 0
		.amdhsa_system_sgpr_workgroup_info 0
		.amdhsa_system_vgpr_workitem_id 0
		.amdhsa_next_free_vgpr 11
		.amdhsa_next_free_sgpr 16
		.amdhsa_reserve_vcc 1
		.amdhsa_float_round_mode_32 0
		.amdhsa_float_round_mode_16_64 0
		.amdhsa_float_denorm_mode_32 3
		.amdhsa_float_denorm_mode_16_64 3
		.amdhsa_dx10_clamp 1
		.amdhsa_ieee_mode 1
		.amdhsa_fp16_overflow 0
		.amdhsa_workgroup_processor_mode 1
		.amdhsa_memory_ordered 1
		.amdhsa_forward_progress 0
		.amdhsa_shared_vgpr_count 0
		.amdhsa_exception_fp_ieee_invalid_op 0
		.amdhsa_exception_fp_denorm_src 0
		.amdhsa_exception_fp_ieee_div_zero 0
		.amdhsa_exception_fp_ieee_overflow 0
		.amdhsa_exception_fp_ieee_underflow 0
		.amdhsa_exception_fp_ieee_inexact 0
		.amdhsa_exception_int_div_zero 0
	.end_amdhsa_kernel
	.section	.text._ZN9rocsparseL23sddmm_ell_sample_kernelILi16ELi32EDF16_iDF16_EEvT2_S1_PKT3_lS1_PS2_PKS1_21rocsparse_index_base_,"axG",@progbits,_ZN9rocsparseL23sddmm_ell_sample_kernelILi16ELi32EDF16_iDF16_EEvT2_S1_PKT3_lS1_PS2_PKS1_21rocsparse_index_base_,comdat
.Lfunc_end0:
	.size	_ZN9rocsparseL23sddmm_ell_sample_kernelILi16ELi32EDF16_iDF16_EEvT2_S1_PKT3_lS1_PS2_PKS1_21rocsparse_index_base_, .Lfunc_end0-_ZN9rocsparseL23sddmm_ell_sample_kernelILi16ELi32EDF16_iDF16_EEvT2_S1_PKT3_lS1_PS2_PKS1_21rocsparse_index_base_
                                        ; -- End function
	.section	.AMDGPU.csdata,"",@progbits
; Kernel info:
; codeLenInByte = 376
; NumSgprs: 18
; NumVgprs: 11
; ScratchSize: 0
; MemoryBound: 0
; FloatMode: 240
; IeeeMode: 1
; LDSByteSize: 0 bytes/workgroup (compile time only)
; SGPRBlocks: 2
; VGPRBlocks: 1
; NumSGPRsForWavesPerEU: 18
; NumVGPRsForWavesPerEU: 11
; Occupancy: 16
; WaveLimiterHint : 1
; COMPUTE_PGM_RSRC2:SCRATCH_EN: 0
; COMPUTE_PGM_RSRC2:USER_SGPR: 15
; COMPUTE_PGM_RSRC2:TRAP_HANDLER: 0
; COMPUTE_PGM_RSRC2:TGID_X_EN: 1
; COMPUTE_PGM_RSRC2:TGID_Y_EN: 0
; COMPUTE_PGM_RSRC2:TGID_Z_EN: 0
; COMPUTE_PGM_RSRC2:TIDIG_COMP_CNT: 0
	.section	.text._ZN9rocsparseL23sddmm_ell_sample_kernelILi16ELi64EDF16_iDF16_EEvT2_S1_PKT3_lS1_PS2_PKS1_21rocsparse_index_base_,"axG",@progbits,_ZN9rocsparseL23sddmm_ell_sample_kernelILi16ELi64EDF16_iDF16_EEvT2_S1_PKT3_lS1_PS2_PKS1_21rocsparse_index_base_,comdat
	.globl	_ZN9rocsparseL23sddmm_ell_sample_kernelILi16ELi64EDF16_iDF16_EEvT2_S1_PKT3_lS1_PS2_PKS1_21rocsparse_index_base_ ; -- Begin function _ZN9rocsparseL23sddmm_ell_sample_kernelILi16ELi64EDF16_iDF16_EEvT2_S1_PKT3_lS1_PS2_PKS1_21rocsparse_index_base_
	.p2align	8
	.type	_ZN9rocsparseL23sddmm_ell_sample_kernelILi16ELi64EDF16_iDF16_EEvT2_S1_PKT3_lS1_PS2_PKS1_21rocsparse_index_base_,@function
_ZN9rocsparseL23sddmm_ell_sample_kernelILi16ELi64EDF16_iDF16_EEvT2_S1_PKT3_lS1_PS2_PKS1_21rocsparse_index_base_: ; @_ZN9rocsparseL23sddmm_ell_sample_kernelILi16ELi64EDF16_iDF16_EEvT2_S1_PKT3_lS1_PS2_PKS1_21rocsparse_index_base_
; %bb.0:
	s_load_b32 s2, s[0:1], 0x18
	v_lshrrev_b32_e32 v1, 6, v0
	s_delay_alu instid0(VALU_DEP_1) | instskip(SKIP_1) | instid1(VALU_DEP_1)
	v_lshl_or_b32 v1, s15, 4, v1
	s_waitcnt lgkmcnt(0)
	v_cmp_gt_u32_e32 vcc_lo, s2, v1
	s_and_saveexec_b32 s2, vcc_lo
	s_cbranch_execz .LBB1_6
; %bb.1:
	s_load_b64 s[2:3], s[0:1], 0x0
	v_and_b32_e32 v4, 63, v0
	s_waitcnt lgkmcnt(0)
	s_delay_alu instid0(VALU_DEP_1)
	v_cmp_gt_i32_e32 vcc_lo, s2, v4
	s_and_b32 exec_lo, exec_lo, vcc_lo
	s_cbranch_execz .LBB1_6
; %bb.2:
	s_clause 0x2
	s_load_b128 s[8:11], s[0:1], 0x8
	s_load_b128 s[4:7], s[0:1], 0x20
	s_load_b32 s1, s[0:1], 0x30
	v_and_b32_e32 v0, 63, v0
	v_mul_lo_u32 v5, v1, s2
	s_delay_alu instid0(VALU_DEP_2) | instskip(SKIP_1) | instid1(VALU_DEP_1)
	v_dual_mov_b32 v1, 0 :: v_dual_lshlrev_b32 v0, 1, v0
	s_waitcnt lgkmcnt(0)
	v_add_co_u32 v2, s0, s8, v0
	s_delay_alu instid0(VALU_DEP_1)
	v_add_co_ci_u32_e64 v3, null, s9, 0, s0
	s_lshl_b64 s[8:9], s[10:11], 1
	s_mov_b32 s10, 0
	s_set_inst_prefetch_distance 0x1
	s_branch .LBB1_4
	.p2align	6
.LBB1_3:                                ;   in Loop: Header=BB1_4 Depth=1
	s_or_b32 exec_lo, exec_lo, s0
	v_add_nc_u32_e32 v4, 64, v4
	v_add_co_u32 v2, s0, 0x80, v2
	s_delay_alu instid0(VALU_DEP_1) | instskip(NEXT) | instid1(VALU_DEP_3)
	v_add_co_ci_u32_e64 v3, s0, 0, v3, s0
	v_cmp_le_i32_e32 vcc_lo, s2, v4
	s_or_b32 s10, vcc_lo, s10
	s_delay_alu instid0(SALU_CYCLE_1)
	s_and_not1_b32 exec_lo, exec_lo, s10
	s_cbranch_execz .LBB1_6
.LBB1_4:                                ; =>This Inner Loop Header: Depth=1
	v_add_nc_u32_e32 v0, v5, v4
	s_delay_alu instid0(VALU_DEP_1) | instskip(NEXT) | instid1(VALU_DEP_1)
	v_lshlrev_b64 v[6:7], 2, v[0:1]
	v_add_co_u32 v6, vcc_lo, s6, v6
	s_delay_alu instid0(VALU_DEP_2) | instskip(SKIP_3) | instid1(VALU_DEP_1)
	v_add_co_ci_u32_e32 v7, vcc_lo, s7, v7, vcc_lo
	global_load_b32 v6, v[6:7], off
	s_waitcnt vmcnt(0)
	v_subrev_nc_u32_e32 v6, s1, v6
	v_cmp_lt_i32_e32 vcc_lo, -1, v6
	v_cmp_gt_i32_e64 s0, s3, v6
	s_delay_alu instid0(VALU_DEP_1) | instskip(NEXT) | instid1(SALU_CYCLE_1)
	s_and_b32 s11, vcc_lo, s0
	s_and_saveexec_b32 s0, s11
	s_cbranch_execz .LBB1_3
; %bb.5:                                ;   in Loop: Header=BB1_4 Depth=1
	v_mad_u64_u32 v[7:8], null, s8, v6, v[2:3]
	s_delay_alu instid0(VALU_DEP_1) | instskip(NEXT) | instid1(VALU_DEP_1)
	v_mad_u64_u32 v[9:10], null, s9, v6, v[8:9]
	v_mov_b32_e32 v8, v9
	global_load_u16 v8, v[7:8], off
	v_lshlrev_b64 v[6:7], 1, v[0:1]
	s_delay_alu instid0(VALU_DEP_1) | instskip(NEXT) | instid1(VALU_DEP_2)
	v_add_co_u32 v6, vcc_lo, s4, v6
	v_add_co_ci_u32_e32 v7, vcc_lo, s5, v7, vcc_lo
	s_waitcnt vmcnt(0)
	global_store_b16 v[6:7], v8, off
	s_branch .LBB1_3
.LBB1_6:
	s_set_inst_prefetch_distance 0x2
	s_nop 0
	s_sendmsg sendmsg(MSG_DEALLOC_VGPRS)
	s_endpgm
	.section	.rodata,"a",@progbits
	.p2align	6, 0x0
	.amdhsa_kernel _ZN9rocsparseL23sddmm_ell_sample_kernelILi16ELi64EDF16_iDF16_EEvT2_S1_PKT3_lS1_PS2_PKS1_21rocsparse_index_base_
		.amdhsa_group_segment_fixed_size 0
		.amdhsa_private_segment_fixed_size 0
		.amdhsa_kernarg_size 52
		.amdhsa_user_sgpr_count 15
		.amdhsa_user_sgpr_dispatch_ptr 0
		.amdhsa_user_sgpr_queue_ptr 0
		.amdhsa_user_sgpr_kernarg_segment_ptr 1
		.amdhsa_user_sgpr_dispatch_id 0
		.amdhsa_user_sgpr_private_segment_size 0
		.amdhsa_wavefront_size32 1
		.amdhsa_uses_dynamic_stack 0
		.amdhsa_enable_private_segment 0
		.amdhsa_system_sgpr_workgroup_id_x 1
		.amdhsa_system_sgpr_workgroup_id_y 0
		.amdhsa_system_sgpr_workgroup_id_z 0
		.amdhsa_system_sgpr_workgroup_info 0
		.amdhsa_system_vgpr_workitem_id 0
		.amdhsa_next_free_vgpr 11
		.amdhsa_next_free_sgpr 16
		.amdhsa_reserve_vcc 1
		.amdhsa_float_round_mode_32 0
		.amdhsa_float_round_mode_16_64 0
		.amdhsa_float_denorm_mode_32 3
		.amdhsa_float_denorm_mode_16_64 3
		.amdhsa_dx10_clamp 1
		.amdhsa_ieee_mode 1
		.amdhsa_fp16_overflow 0
		.amdhsa_workgroup_processor_mode 1
		.amdhsa_memory_ordered 1
		.amdhsa_forward_progress 0
		.amdhsa_shared_vgpr_count 0
		.amdhsa_exception_fp_ieee_invalid_op 0
		.amdhsa_exception_fp_denorm_src 0
		.amdhsa_exception_fp_ieee_div_zero 0
		.amdhsa_exception_fp_ieee_overflow 0
		.amdhsa_exception_fp_ieee_underflow 0
		.amdhsa_exception_fp_ieee_inexact 0
		.amdhsa_exception_int_div_zero 0
	.end_amdhsa_kernel
	.section	.text._ZN9rocsparseL23sddmm_ell_sample_kernelILi16ELi64EDF16_iDF16_EEvT2_S1_PKT3_lS1_PS2_PKS1_21rocsparse_index_base_,"axG",@progbits,_ZN9rocsparseL23sddmm_ell_sample_kernelILi16ELi64EDF16_iDF16_EEvT2_S1_PKT3_lS1_PS2_PKS1_21rocsparse_index_base_,comdat
.Lfunc_end1:
	.size	_ZN9rocsparseL23sddmm_ell_sample_kernelILi16ELi64EDF16_iDF16_EEvT2_S1_PKT3_lS1_PS2_PKS1_21rocsparse_index_base_, .Lfunc_end1-_ZN9rocsparseL23sddmm_ell_sample_kernelILi16ELi64EDF16_iDF16_EEvT2_S1_PKT3_lS1_PS2_PKS1_21rocsparse_index_base_
                                        ; -- End function
	.section	.AMDGPU.csdata,"",@progbits
; Kernel info:
; codeLenInByte = 380
; NumSgprs: 18
; NumVgprs: 11
; ScratchSize: 0
; MemoryBound: 0
; FloatMode: 240
; IeeeMode: 1
; LDSByteSize: 0 bytes/workgroup (compile time only)
; SGPRBlocks: 2
; VGPRBlocks: 1
; NumSGPRsForWavesPerEU: 18
; NumVGPRsForWavesPerEU: 11
; Occupancy: 16
; WaveLimiterHint : 1
; COMPUTE_PGM_RSRC2:SCRATCH_EN: 0
; COMPUTE_PGM_RSRC2:USER_SGPR: 15
; COMPUTE_PGM_RSRC2:TRAP_HANDLER: 0
; COMPUTE_PGM_RSRC2:TGID_X_EN: 1
; COMPUTE_PGM_RSRC2:TGID_Y_EN: 0
; COMPUTE_PGM_RSRC2:TGID_Z_EN: 0
; COMPUTE_PGM_RSRC2:TIDIG_COMP_CNT: 0
	.section	.text._ZN9rocsparseL16sddmm_ell_kernelILi512ELi8EDF16_iiDF16_DF16_DF16_EEv20rocsparse_operation_S1_16rocsparse_order_S2_T3_S3_S3_T2_NS_24const_host_device_scalarIT1_EEPKT4_lPKT5_lS7_PT6_PKS3_21rocsparse_index_base_b,"axG",@progbits,_ZN9rocsparseL16sddmm_ell_kernelILi512ELi8EDF16_iiDF16_DF16_DF16_EEv20rocsparse_operation_S1_16rocsparse_order_S2_T3_S3_S3_T2_NS_24const_host_device_scalarIT1_EEPKT4_lPKT5_lS7_PT6_PKS3_21rocsparse_index_base_b,comdat
	.globl	_ZN9rocsparseL16sddmm_ell_kernelILi512ELi8EDF16_iiDF16_DF16_DF16_EEv20rocsparse_operation_S1_16rocsparse_order_S2_T3_S3_S3_T2_NS_24const_host_device_scalarIT1_EEPKT4_lPKT5_lS7_PT6_PKS3_21rocsparse_index_base_b ; -- Begin function _ZN9rocsparseL16sddmm_ell_kernelILi512ELi8EDF16_iiDF16_DF16_DF16_EEv20rocsparse_operation_S1_16rocsparse_order_S2_T3_S3_S3_T2_NS_24const_host_device_scalarIT1_EEPKT4_lPKT5_lS7_PT6_PKS3_21rocsparse_index_base_b
	.p2align	8
	.type	_ZN9rocsparseL16sddmm_ell_kernelILi512ELi8EDF16_iiDF16_DF16_DF16_EEv20rocsparse_operation_S1_16rocsparse_order_S2_T3_S3_S3_T2_NS_24const_host_device_scalarIT1_EEPKT4_lPKT5_lS7_PT6_PKS3_21rocsparse_index_base_b,@function
_ZN9rocsparseL16sddmm_ell_kernelILi512ELi8EDF16_iiDF16_DF16_DF16_EEv20rocsparse_operation_S1_16rocsparse_order_S2_T3_S3_S3_T2_NS_24const_host_device_scalarIT1_EEPKT4_lPKT5_lS7_PT6_PKS3_21rocsparse_index_base_b: ; @_ZN9rocsparseL16sddmm_ell_kernelILi512ELi8EDF16_iiDF16_DF16_DF16_EEv20rocsparse_operation_S1_16rocsparse_order_S2_T3_S3_S3_T2_NS_24const_host_device_scalarIT1_EEPKT4_lPKT5_lS7_PT6_PKS3_21rocsparse_index_base_b
; %bb.0:
	s_clause 0x2
	s_load_b64 s[8:9], s[0:1], 0x60
	s_load_b64 s[2:3], s[0:1], 0x20
	s_load_b128 s[4:7], s[0:1], 0x40
	s_waitcnt lgkmcnt(0)
	s_bitcmp1_b32 s9, 0
	v_mov_b32_e32 v9, s2
	s_cselect_b32 s9, -1, 0
	s_delay_alu instid0(SALU_CYCLE_1)
	s_and_b32 vcc_lo, exec_lo, s9
	s_xor_b32 s9, s9, -1
	s_cbranch_vccnz .LBB2_2
; %bb.1:
	v_mov_b32_e32 v1, 0
	global_load_u16 v9, v1, s[2:3]
.LBB2_2:
	v_mov_b32_e32 v10, s6
	s_and_not1_b32 vcc_lo, exec_lo, s9
	s_cbranch_vccnz .LBB2_4
; %bb.3:
	v_mov_b32_e32 v1, 0
	global_load_u16 v10, v1, s[6:7]
.LBB2_4:
	s_waitcnt vmcnt(0)
	v_cmp_eq_f16_e32 vcc_lo, 0, v9
	v_cmp_eq_f16_e64 s2, 1.0, v10
	s_delay_alu instid0(VALU_DEP_1) | instskip(NEXT) | instid1(SALU_CYCLE_1)
	s_and_b32 s2, vcc_lo, s2
	s_and_b32 vcc_lo, exec_lo, s2
	s_cbranch_vccnz .LBB2_35
; %bb.5:
	s_load_b64 s[2:3], s[0:1], 0x18
	v_lshrrev_b32_e32 v11, 3, v0
	s_delay_alu instid0(VALU_DEP_1) | instskip(SKIP_1) | instid1(VALU_DEP_1)
	v_lshl_or_b32 v1, s15, 6, v11
	s_waitcnt lgkmcnt(0)
	v_cmp_gt_i32_e32 vcc_lo, s3, v1
	s_and_saveexec_b32 s3, vcc_lo
	s_cbranch_execz .LBB2_35
; %bb.6:
	s_load_b64 s[6:7], s[0:1], 0x58
	v_ashrrev_i32_e32 v2, 31, v1
	s_delay_alu instid0(VALU_DEP_1) | instskip(SKIP_1) | instid1(VALU_DEP_1)
	v_lshlrev_b64 v[3:4], 2, v[1:2]
	s_waitcnt lgkmcnt(0)
	v_add_co_u32 v3, vcc_lo, s6, v3
	s_delay_alu instid0(VALU_DEP_2) | instskip(SKIP_4) | instid1(VALU_DEP_1)
	v_add_co_ci_u32_e32 v4, vcc_lo, s7, v4, vcc_lo
	s_mov_b32 s7, -1
	global_load_b32 v3, v[3:4], off
	s_waitcnt vmcnt(0)
	v_subrev_nc_u32_e32 v3, s8, v3
	v_cmp_lt_i32_e32 vcc_lo, -1, v3
	s_and_b32 exec_lo, exec_lo, vcc_lo
	s_cbranch_execz .LBB2_35
; %bb.7:
	s_clause 0x1
	s_load_b128 s[8:11], s[0:1], 0x0
	s_load_b32 s12, s[0:1], 0x10
	v_sub_nc_u32_e32 v6, 0, v1
	s_waitcnt lgkmcnt(0)
	s_cmp_eq_u32 s10, 1
	s_cselect_b32 s3, -1, 0
	s_cmpk_eq_i32 s8, 0x6f
	s_cselect_b32 s14, -1, 0
	s_cmpk_lg_i32 s8, 0x6f
	s_cselect_b32 s6, -1, 0
	s_abs_i32 s8, s12
	s_delay_alu instid0(SALU_CYCLE_1) | instskip(SKIP_2) | instid1(VALU_DEP_1)
	v_cvt_f32_u32_e32 v4, s8
	s_sub_i32 s12, 0, s8
	s_cmp_lg_u32 s10, 1
	v_rcp_iflag_f32_e32 v4, v4
	s_waitcnt_depctr 0xfff
	v_mul_f32_e32 v4, 0x4f7ffffe, v4
	s_delay_alu instid0(VALU_DEP_1) | instskip(NEXT) | instid1(VALU_DEP_1)
	v_cvt_u32_f32_e32 v4, v4
	v_mul_lo_u32 v5, s12, v4
	s_load_b64 s[12:13], s[0:1], 0x30
	s_delay_alu instid0(VALU_DEP_1) | instskip(NEXT) | instid1(VALU_DEP_1)
	v_mul_hi_u32 v5, v4, v5
	v_add_nc_u32_e32 v4, v4, v5
	v_max_i32_e32 v5, v1, v6
	s_delay_alu instid0(VALU_DEP_1) | instskip(NEXT) | instid1(VALU_DEP_1)
	v_mul_hi_u32 v4, v5, v4
	v_mul_lo_u32 v4, v4, s8
	s_delay_alu instid0(VALU_DEP_1) | instskip(NEXT) | instid1(VALU_DEP_1)
	v_sub_nc_u32_e32 v4, v5, v4
	v_subrev_nc_u32_e32 v5, s8, v4
	v_cmp_le_u32_e32 vcc_lo, s8, v4
	s_delay_alu instid0(VALU_DEP_2) | instskip(NEXT) | instid1(VALU_DEP_1)
	v_cndmask_b32_e32 v4, v4, v5, vcc_lo
	v_subrev_nc_u32_e32 v5, s8, v4
	v_cmp_le_u32_e32 vcc_lo, s8, v4
	s_delay_alu instid0(VALU_DEP_2) | instskip(NEXT) | instid1(VALU_DEP_1)
	v_cndmask_b32_e32 v4, v4, v5, vcc_lo
	v_xor_b32_e32 v4, v4, v2
	s_delay_alu instid0(VALU_DEP_1) | instskip(NEXT) | instid1(VALU_DEP_1)
	v_sub_nc_u32_e32 v7, v4, v2
	v_ashrrev_i32_e32 v8, 31, v7
	s_cbranch_scc0 .LBB2_11
; %bb.8:
	s_delay_alu instid0(VALU_DEP_1)
	v_dual_mov_b32 v5, v7 :: v_dual_mov_b32 v6, v8
	s_and_not1_b32 vcc_lo, exec_lo, s14
	s_cbranch_vccnz .LBB2_10
; %bb.9:
	s_waitcnt lgkmcnt(0)
	v_mul_lo_u32 v4, v8, s12
	v_mul_lo_u32 v12, v7, s13
	v_mad_u64_u32 v[5:6], null, v7, s12, 0
	s_delay_alu instid0(VALU_DEP_1)
	v_add3_u32 v6, v6, v12, v4
.LBB2_10:
	s_cbranch_execz .LBB2_12
	s_branch .LBB2_15
.LBB2_11:
                                        ; implicit-def: $vgpr5_vgpr6
	s_and_not1_b32 vcc_lo, exec_lo, s7
	s_cbranch_vccnz .LBB2_15
.LBB2_12:
	s_and_not1_b32 vcc_lo, exec_lo, s6
	s_cbranch_vccnz .LBB2_14
; %bb.13:
	s_waitcnt lgkmcnt(0)
	v_mul_lo_u32 v6, v8, s12
	v_mul_lo_u32 v8, v7, s13
	v_mad_u64_u32 v[4:5], null, v7, s12, 0
	s_delay_alu instid0(VALU_DEP_1) | instskip(NEXT) | instid1(VALU_DEP_1)
	v_add3_u32 v5, v5, v8, v6
	v_dual_mov_b32 v8, v5 :: v_dual_mov_b32 v7, v4
.LBB2_14:
	s_delay_alu instid0(VALU_DEP_1)
	v_dual_mov_b32 v5, v7 :: v_dual_mov_b32 v6, v8
.LBB2_15:
	s_cmp_eq_u32 s11, 1
	v_mov_b32_e32 v4, 0
	s_cselect_b32 s8, -1, 0
	s_cmpk_eq_i32 s9, 0x6f
	s_cselect_b32 s15, -1, 0
	s_cmpk_lg_i32 s9, 0x6f
	s_cselect_b32 s6, -1, 0
	s_cmp_lg_u32 s11, 1
	s_cbranch_scc0 .LBB2_19
; %bb.16:
	v_dual_mov_b32 v8, v4 :: v_dual_mov_b32 v7, v3
	s_and_not1_b32 vcc_lo, exec_lo, s6
	s_cbranch_vccnz .LBB2_18
; %bb.17:
	v_mad_u64_u32 v[7:8], null, v3, s4, 0
	s_delay_alu instid0(VALU_DEP_1) | instskip(NEXT) | instid1(VALU_DEP_1)
	v_mad_u64_u32 v[12:13], null, v3, s5, v[8:9]
	v_mov_b32_e32 v8, v12
.LBB2_18:
	s_cbranch_execz .LBB2_20
	s_branch .LBB2_23
.LBB2_19:
                                        ; implicit-def: $vgpr7_vgpr8
.LBB2_20:
	s_and_not1_b32 vcc_lo, exec_lo, s15
	s_cbranch_vccnz .LBB2_22
; %bb.21:
	v_mad_u64_u32 v[7:8], null, v3, s4, 0
	s_delay_alu instid0(VALU_DEP_1) | instskip(NEXT) | instid1(VALU_DEP_1)
	v_mov_b32_e32 v4, v8
	v_mad_u64_u32 v[12:13], null, v3, s5, v[4:5]
	s_delay_alu instid0(VALU_DEP_1) | instskip(NEXT) | instid1(VALU_DEP_1)
	v_mov_b32_e32 v8, v12
	v_dual_mov_b32 v3, v7 :: v_dual_mov_b32 v4, v8
.LBB2_22:
	s_delay_alu instid0(VALU_DEP_1)
	v_dual_mov_b32 v8, v4 :: v_dual_mov_b32 v7, v3
.LBB2_23:
	s_load_b64 s[6:7], s[0:1], 0x50
	v_dual_mov_b32 v13, 0 :: v_dual_and_b32 v12, 7, v0
	s_mov_b32 s10, exec_lo
	s_delay_alu instid0(VALU_DEP_1)
	v_cmpx_gt_i32_e64 s2, v12
	s_cbranch_execz .LBB2_27
; %bb.24:
	s_xor_b32 s3, s14, s3
	v_and_b32_e32 v13, 7, v0
	s_and_b32 s3, s3, exec_lo
	s_waitcnt lgkmcnt(0)
	s_cselect_b32 s12, 1, s12
	s_cselect_b32 s13, 0, s13
	s_xor_b32 s3, s15, s8
	v_mad_u64_u32 v[3:4], null, s12, v13, 0
	s_and_b32 s3, s3, exec_lo
	s_cselect_b32 s8, s4, 1
	s_cselect_b32 s9, s5, 0
	s_clause 0x1
	s_load_b64 s[4:5], s[0:1], 0x28
	s_load_b64 s[0:1], s[0:1], 0x38
	v_lshlrev_b64 v[7:8], 1, v[7:8]
	v_mov_b32_e32 v0, v4
	v_mad_u64_u32 v[14:15], null, s8, v13, 0
	s_delay_alu instid0(VALU_DEP_1) | instskip(NEXT) | instid1(VALU_DEP_3)
	v_mov_b32_e32 v4, v15
	v_mad_u64_u32 v[15:16], null, s13, v13, v[0:1]
	s_delay_alu instid0(VALU_DEP_2) | instskip(SKIP_1) | instid1(VALU_DEP_3)
	v_mad_u64_u32 v[16:17], null, s9, v13, v[4:5]
	v_lshlrev_b64 v[5:6], 1, v[5:6]
	v_dual_mov_b32 v13, 0 :: v_dual_mov_b32 v4, v15
	s_lshl_b64 s[8:9], s[8:9], 4
	s_delay_alu instid0(VALU_DEP_3) | instskip(NEXT) | instid1(VALU_DEP_2)
	v_mov_b32_e32 v15, v16
	v_lshlrev_b64 v[3:4], 1, v[3:4]
	s_delay_alu instid0(VALU_DEP_2) | instskip(NEXT) | instid1(VALU_DEP_2)
	v_lshlrev_b64 v[14:15], 1, v[14:15]
	v_add_co_u32 v0, vcc_lo, v3, v5
	s_delay_alu instid0(VALU_DEP_3) | instskip(NEXT) | instid1(VALU_DEP_3)
	v_add_co_ci_u32_e32 v4, vcc_lo, v4, v6, vcc_lo
	v_add_co_u32 v5, vcc_lo, v14, v7
	s_delay_alu instid0(VALU_DEP_4)
	v_add_co_ci_u32_e32 v6, vcc_lo, v15, v8, vcc_lo
	s_waitcnt lgkmcnt(0)
	v_add_co_u32 v3, vcc_lo, s4, v0
	v_add_co_ci_u32_e32 v4, vcc_lo, s5, v4, vcc_lo
	v_add_co_u32 v5, vcc_lo, s0, v5
	v_add_co_ci_u32_e32 v6, vcc_lo, s1, v6, vcc_lo
	v_mov_b32_e32 v0, v12
	s_mov_b32 s1, 0
	s_lshl_b64 s[4:5], s[12:13], 4
	.p2align	6
.LBB2_25:                               ; =>This Inner Loop Header: Depth=1
	global_load_u16 v7, v[3:4], off
	global_load_u16 v8, v[5:6], off
	v_add_nc_u32_e32 v0, 8, v0
	v_add_co_u32 v3, vcc_lo, v3, s4
	v_add_co_ci_u32_e32 v4, vcc_lo, s5, v4, vcc_lo
	v_add_co_u32 v5, vcc_lo, v5, s8
	s_delay_alu instid0(VALU_DEP_4) | instskip(SKIP_1) | instid1(VALU_DEP_2)
	v_cmp_le_i32_e64 s0, s2, v0
	v_add_co_ci_u32_e32 v6, vcc_lo, s9, v6, vcc_lo
	s_or_b32 s1, s0, s1
	s_waitcnt vmcnt(0)
	v_fmac_f16_e32 v13, v7, v8
	s_and_not1_b32 exec_lo, exec_lo, s1
	s_cbranch_execnz .LBB2_25
; %bb.26:
	s_or_b32 exec_lo, exec_lo, s1
.LBB2_27:
	s_delay_alu instid0(SALU_CYCLE_1) | instskip(SKIP_2) | instid1(VALU_DEP_1)
	s_or_b32 exec_lo, exec_lo, s10
	v_lshlrev_b32_e32 v0, 1, v12
	s_mov_b32 s0, exec_lo
	v_lshl_or_b32 v0, v11, 4, v0
	ds_store_b16 v0, v13
	s_waitcnt lgkmcnt(0)
	s_barrier
	buffer_gl0_inv
	v_cmpx_gt_u32_e32 4, v12
	s_cbranch_execz .LBB2_29
; %bb.28:
	ds_load_u16 v3, v0
	ds_load_u16 v4, v0 offset:8
	s_waitcnt lgkmcnt(0)
	v_add_f16_e32 v3, v4, v3
	ds_store_b16 v0, v3
.LBB2_29:
	s_or_b32 exec_lo, exec_lo, s0
	s_delay_alu instid0(SALU_CYCLE_1)
	s_mov_b32 s0, exec_lo
	s_waitcnt lgkmcnt(0)
	s_barrier
	buffer_gl0_inv
	v_cmpx_gt_u32_e32 2, v12
	s_cbranch_execz .LBB2_31
; %bb.30:
	ds_load_u16 v3, v0
	ds_load_u16 v4, v0 offset:4
	s_waitcnt lgkmcnt(0)
	v_add_f16_e32 v3, v4, v3
	ds_store_b16 v0, v3
.LBB2_31:
	s_or_b32 exec_lo, exec_lo, s0
	v_cmp_eq_u32_e32 vcc_lo, 0, v12
	v_lshlrev_b32_e32 v3, 4, v11
	s_waitcnt lgkmcnt(0)
	s_barrier
	buffer_gl0_inv
	s_and_saveexec_b32 s0, vcc_lo
	s_cbranch_execz .LBB2_33
; %bb.32:
	ds_load_u16 v4, v3 offset:2
	ds_load_u16 v5, v0
	s_waitcnt lgkmcnt(0)
	v_add_f16_e32 v4, v4, v5
	ds_store_b16 v0, v4
.LBB2_33:
	s_or_b32 exec_lo, exec_lo, s0
	s_waitcnt lgkmcnt(0)
	s_barrier
	buffer_gl0_inv
	s_and_b32 exec_lo, exec_lo, vcc_lo
	s_cbranch_execz .LBB2_35
; %bb.34:
	v_lshlrev_b64 v[0:1], 1, v[1:2]
	ds_load_u16 v3, v3
	v_add_co_u32 v0, vcc_lo, s6, v0
	v_add_co_ci_u32_e32 v1, vcc_lo, s7, v1, vcc_lo
	global_load_u16 v2, v[0:1], off
	s_waitcnt lgkmcnt(0)
	v_mul_f16_e32 v3, v9, v3
	s_waitcnt vmcnt(0)
	s_delay_alu instid0(VALU_DEP_1)
	v_fmac_f16_e32 v3, v10, v2
	global_store_b16 v[0:1], v3, off
.LBB2_35:
	s_nop 0
	s_sendmsg sendmsg(MSG_DEALLOC_VGPRS)
	s_endpgm
	.section	.rodata,"a",@progbits
	.p2align	6, 0x0
	.amdhsa_kernel _ZN9rocsparseL16sddmm_ell_kernelILi512ELi8EDF16_iiDF16_DF16_DF16_EEv20rocsparse_operation_S1_16rocsparse_order_S2_T3_S3_S3_T2_NS_24const_host_device_scalarIT1_EEPKT4_lPKT5_lS7_PT6_PKS3_21rocsparse_index_base_b
		.amdhsa_group_segment_fixed_size 1024
		.amdhsa_private_segment_fixed_size 0
		.amdhsa_kernarg_size 104
		.amdhsa_user_sgpr_count 15
		.amdhsa_user_sgpr_dispatch_ptr 0
		.amdhsa_user_sgpr_queue_ptr 0
		.amdhsa_user_sgpr_kernarg_segment_ptr 1
		.amdhsa_user_sgpr_dispatch_id 0
		.amdhsa_user_sgpr_private_segment_size 0
		.amdhsa_wavefront_size32 1
		.amdhsa_uses_dynamic_stack 0
		.amdhsa_enable_private_segment 0
		.amdhsa_system_sgpr_workgroup_id_x 1
		.amdhsa_system_sgpr_workgroup_id_y 0
		.amdhsa_system_sgpr_workgroup_id_z 0
		.amdhsa_system_sgpr_workgroup_info 0
		.amdhsa_system_vgpr_workitem_id 0
		.amdhsa_next_free_vgpr 18
		.amdhsa_next_free_sgpr 16
		.amdhsa_reserve_vcc 1
		.amdhsa_float_round_mode_32 0
		.amdhsa_float_round_mode_16_64 0
		.amdhsa_float_denorm_mode_32 3
		.amdhsa_float_denorm_mode_16_64 3
		.amdhsa_dx10_clamp 1
		.amdhsa_ieee_mode 1
		.amdhsa_fp16_overflow 0
		.amdhsa_workgroup_processor_mode 1
		.amdhsa_memory_ordered 1
		.amdhsa_forward_progress 0
		.amdhsa_shared_vgpr_count 0
		.amdhsa_exception_fp_ieee_invalid_op 0
		.amdhsa_exception_fp_denorm_src 0
		.amdhsa_exception_fp_ieee_div_zero 0
		.amdhsa_exception_fp_ieee_overflow 0
		.amdhsa_exception_fp_ieee_underflow 0
		.amdhsa_exception_fp_ieee_inexact 0
		.amdhsa_exception_int_div_zero 0
	.end_amdhsa_kernel
	.section	.text._ZN9rocsparseL16sddmm_ell_kernelILi512ELi8EDF16_iiDF16_DF16_DF16_EEv20rocsparse_operation_S1_16rocsparse_order_S2_T3_S3_S3_T2_NS_24const_host_device_scalarIT1_EEPKT4_lPKT5_lS7_PT6_PKS3_21rocsparse_index_base_b,"axG",@progbits,_ZN9rocsparseL16sddmm_ell_kernelILi512ELi8EDF16_iiDF16_DF16_DF16_EEv20rocsparse_operation_S1_16rocsparse_order_S2_T3_S3_S3_T2_NS_24const_host_device_scalarIT1_EEPKT4_lPKT5_lS7_PT6_PKS3_21rocsparse_index_base_b,comdat
.Lfunc_end2:
	.size	_ZN9rocsparseL16sddmm_ell_kernelILi512ELi8EDF16_iiDF16_DF16_DF16_EEv20rocsparse_operation_S1_16rocsparse_order_S2_T3_S3_S3_T2_NS_24const_host_device_scalarIT1_EEPKT4_lPKT5_lS7_PT6_PKS3_21rocsparse_index_base_b, .Lfunc_end2-_ZN9rocsparseL16sddmm_ell_kernelILi512ELi8EDF16_iiDF16_DF16_DF16_EEv20rocsparse_operation_S1_16rocsparse_order_S2_T3_S3_S3_T2_NS_24const_host_device_scalarIT1_EEPKT4_lPKT5_lS7_PT6_PKS3_21rocsparse_index_base_b
                                        ; -- End function
	.section	.AMDGPU.csdata,"",@progbits
; Kernel info:
; codeLenInByte = 1424
; NumSgprs: 18
; NumVgprs: 18
; ScratchSize: 0
; MemoryBound: 0
; FloatMode: 240
; IeeeMode: 1
; LDSByteSize: 1024 bytes/workgroup (compile time only)
; SGPRBlocks: 2
; VGPRBlocks: 2
; NumSGPRsForWavesPerEU: 18
; NumVGPRsForWavesPerEU: 18
; Occupancy: 16
; WaveLimiterHint : 0
; COMPUTE_PGM_RSRC2:SCRATCH_EN: 0
; COMPUTE_PGM_RSRC2:USER_SGPR: 15
; COMPUTE_PGM_RSRC2:TRAP_HANDLER: 0
; COMPUTE_PGM_RSRC2:TGID_X_EN: 1
; COMPUTE_PGM_RSRC2:TGID_Y_EN: 0
; COMPUTE_PGM_RSRC2:TGID_Z_EN: 0
; COMPUTE_PGM_RSRC2:TIDIG_COMP_CNT: 0
	.section	.text._ZN9rocsparseL16sddmm_ell_kernelILi512ELi4EDF16_iiDF16_DF16_DF16_EEv20rocsparse_operation_S1_16rocsparse_order_S2_T3_S3_S3_T2_NS_24const_host_device_scalarIT1_EEPKT4_lPKT5_lS7_PT6_PKS3_21rocsparse_index_base_b,"axG",@progbits,_ZN9rocsparseL16sddmm_ell_kernelILi512ELi4EDF16_iiDF16_DF16_DF16_EEv20rocsparse_operation_S1_16rocsparse_order_S2_T3_S3_S3_T2_NS_24const_host_device_scalarIT1_EEPKT4_lPKT5_lS7_PT6_PKS3_21rocsparse_index_base_b,comdat
	.globl	_ZN9rocsparseL16sddmm_ell_kernelILi512ELi4EDF16_iiDF16_DF16_DF16_EEv20rocsparse_operation_S1_16rocsparse_order_S2_T3_S3_S3_T2_NS_24const_host_device_scalarIT1_EEPKT4_lPKT5_lS7_PT6_PKS3_21rocsparse_index_base_b ; -- Begin function _ZN9rocsparseL16sddmm_ell_kernelILi512ELi4EDF16_iiDF16_DF16_DF16_EEv20rocsparse_operation_S1_16rocsparse_order_S2_T3_S3_S3_T2_NS_24const_host_device_scalarIT1_EEPKT4_lPKT5_lS7_PT6_PKS3_21rocsparse_index_base_b
	.p2align	8
	.type	_ZN9rocsparseL16sddmm_ell_kernelILi512ELi4EDF16_iiDF16_DF16_DF16_EEv20rocsparse_operation_S1_16rocsparse_order_S2_T3_S3_S3_T2_NS_24const_host_device_scalarIT1_EEPKT4_lPKT5_lS7_PT6_PKS3_21rocsparse_index_base_b,@function
_ZN9rocsparseL16sddmm_ell_kernelILi512ELi4EDF16_iiDF16_DF16_DF16_EEv20rocsparse_operation_S1_16rocsparse_order_S2_T3_S3_S3_T2_NS_24const_host_device_scalarIT1_EEPKT4_lPKT5_lS7_PT6_PKS3_21rocsparse_index_base_b: ; @_ZN9rocsparseL16sddmm_ell_kernelILi512ELi4EDF16_iiDF16_DF16_DF16_EEv20rocsparse_operation_S1_16rocsparse_order_S2_T3_S3_S3_T2_NS_24const_host_device_scalarIT1_EEPKT4_lPKT5_lS7_PT6_PKS3_21rocsparse_index_base_b
; %bb.0:
	s_clause 0x2
	s_load_b64 s[8:9], s[0:1], 0x60
	s_load_b64 s[2:3], s[0:1], 0x20
	s_load_b128 s[4:7], s[0:1], 0x40
	s_waitcnt lgkmcnt(0)
	s_bitcmp1_b32 s9, 0
	v_mov_b32_e32 v9, s2
	s_cselect_b32 s9, -1, 0
	s_delay_alu instid0(SALU_CYCLE_1)
	s_and_b32 vcc_lo, exec_lo, s9
	s_xor_b32 s9, s9, -1
	s_cbranch_vccnz .LBB3_2
; %bb.1:
	v_mov_b32_e32 v1, 0
	global_load_u16 v9, v1, s[2:3]
.LBB3_2:
	v_mov_b32_e32 v10, s6
	s_and_not1_b32 vcc_lo, exec_lo, s9
	s_cbranch_vccnz .LBB3_4
; %bb.3:
	v_mov_b32_e32 v1, 0
	global_load_u16 v10, v1, s[6:7]
.LBB3_4:
	s_waitcnt vmcnt(0)
	v_cmp_eq_f16_e32 vcc_lo, 0, v9
	v_cmp_eq_f16_e64 s2, 1.0, v10
	s_delay_alu instid0(VALU_DEP_1) | instskip(NEXT) | instid1(SALU_CYCLE_1)
	s_and_b32 s2, vcc_lo, s2
	s_and_b32 vcc_lo, exec_lo, s2
	s_cbranch_vccnz .LBB3_33
; %bb.5:
	s_load_b64 s[2:3], s[0:1], 0x18
	v_lshrrev_b32_e32 v11, 2, v0
	s_delay_alu instid0(VALU_DEP_1) | instskip(SKIP_1) | instid1(VALU_DEP_1)
	v_lshl_or_b32 v1, s15, 7, v11
	s_waitcnt lgkmcnt(0)
	v_cmp_gt_i32_e32 vcc_lo, s3, v1
	s_and_saveexec_b32 s3, vcc_lo
	s_cbranch_execz .LBB3_33
; %bb.6:
	s_load_b64 s[6:7], s[0:1], 0x58
	v_ashrrev_i32_e32 v2, 31, v1
	s_delay_alu instid0(VALU_DEP_1) | instskip(SKIP_1) | instid1(VALU_DEP_1)
	v_lshlrev_b64 v[3:4], 2, v[1:2]
	s_waitcnt lgkmcnt(0)
	v_add_co_u32 v3, vcc_lo, s6, v3
	s_delay_alu instid0(VALU_DEP_2) | instskip(SKIP_4) | instid1(VALU_DEP_1)
	v_add_co_ci_u32_e32 v4, vcc_lo, s7, v4, vcc_lo
	s_mov_b32 s7, -1
	global_load_b32 v3, v[3:4], off
	s_waitcnt vmcnt(0)
	v_subrev_nc_u32_e32 v3, s8, v3
	v_cmp_lt_i32_e32 vcc_lo, -1, v3
	s_and_b32 exec_lo, exec_lo, vcc_lo
	s_cbranch_execz .LBB3_33
; %bb.7:
	s_clause 0x1
	s_load_b128 s[8:11], s[0:1], 0x0
	s_load_b32 s12, s[0:1], 0x10
	v_sub_nc_u32_e32 v6, 0, v1
	s_waitcnt lgkmcnt(0)
	s_cmp_eq_u32 s10, 1
	s_cselect_b32 s3, -1, 0
	s_cmpk_eq_i32 s8, 0x6f
	s_cselect_b32 s14, -1, 0
	s_cmpk_lg_i32 s8, 0x6f
	s_cselect_b32 s6, -1, 0
	s_abs_i32 s8, s12
	s_delay_alu instid0(SALU_CYCLE_1) | instskip(SKIP_2) | instid1(VALU_DEP_1)
	v_cvt_f32_u32_e32 v4, s8
	s_sub_i32 s12, 0, s8
	s_cmp_lg_u32 s10, 1
	v_rcp_iflag_f32_e32 v4, v4
	s_waitcnt_depctr 0xfff
	v_mul_f32_e32 v4, 0x4f7ffffe, v4
	s_delay_alu instid0(VALU_DEP_1) | instskip(NEXT) | instid1(VALU_DEP_1)
	v_cvt_u32_f32_e32 v4, v4
	v_mul_lo_u32 v5, s12, v4
	s_load_b64 s[12:13], s[0:1], 0x30
	s_delay_alu instid0(VALU_DEP_1) | instskip(NEXT) | instid1(VALU_DEP_1)
	v_mul_hi_u32 v5, v4, v5
	v_add_nc_u32_e32 v4, v4, v5
	v_max_i32_e32 v5, v1, v6
	s_delay_alu instid0(VALU_DEP_1) | instskip(NEXT) | instid1(VALU_DEP_1)
	v_mul_hi_u32 v4, v5, v4
	v_mul_lo_u32 v4, v4, s8
	s_delay_alu instid0(VALU_DEP_1) | instskip(NEXT) | instid1(VALU_DEP_1)
	v_sub_nc_u32_e32 v4, v5, v4
	v_subrev_nc_u32_e32 v5, s8, v4
	v_cmp_le_u32_e32 vcc_lo, s8, v4
	s_delay_alu instid0(VALU_DEP_2) | instskip(NEXT) | instid1(VALU_DEP_1)
	v_cndmask_b32_e32 v4, v4, v5, vcc_lo
	v_subrev_nc_u32_e32 v5, s8, v4
	v_cmp_le_u32_e32 vcc_lo, s8, v4
	s_delay_alu instid0(VALU_DEP_2) | instskip(NEXT) | instid1(VALU_DEP_1)
	v_cndmask_b32_e32 v4, v4, v5, vcc_lo
	v_xor_b32_e32 v4, v4, v2
	s_delay_alu instid0(VALU_DEP_1) | instskip(NEXT) | instid1(VALU_DEP_1)
	v_sub_nc_u32_e32 v7, v4, v2
	v_ashrrev_i32_e32 v8, 31, v7
	s_cbranch_scc0 .LBB3_11
; %bb.8:
	s_delay_alu instid0(VALU_DEP_1)
	v_dual_mov_b32 v5, v7 :: v_dual_mov_b32 v6, v8
	s_and_not1_b32 vcc_lo, exec_lo, s14
	s_cbranch_vccnz .LBB3_10
; %bb.9:
	s_waitcnt lgkmcnt(0)
	v_mul_lo_u32 v4, v8, s12
	v_mul_lo_u32 v12, v7, s13
	v_mad_u64_u32 v[5:6], null, v7, s12, 0
	s_delay_alu instid0(VALU_DEP_1)
	v_add3_u32 v6, v6, v12, v4
.LBB3_10:
	s_cbranch_execz .LBB3_12
	s_branch .LBB3_15
.LBB3_11:
                                        ; implicit-def: $vgpr5_vgpr6
	s_and_not1_b32 vcc_lo, exec_lo, s7
	s_cbranch_vccnz .LBB3_15
.LBB3_12:
	s_and_not1_b32 vcc_lo, exec_lo, s6
	s_cbranch_vccnz .LBB3_14
; %bb.13:
	s_waitcnt lgkmcnt(0)
	v_mul_lo_u32 v6, v8, s12
	v_mul_lo_u32 v8, v7, s13
	v_mad_u64_u32 v[4:5], null, v7, s12, 0
	s_delay_alu instid0(VALU_DEP_1) | instskip(NEXT) | instid1(VALU_DEP_1)
	v_add3_u32 v5, v5, v8, v6
	v_dual_mov_b32 v8, v5 :: v_dual_mov_b32 v7, v4
.LBB3_14:
	s_delay_alu instid0(VALU_DEP_1)
	v_dual_mov_b32 v5, v7 :: v_dual_mov_b32 v6, v8
.LBB3_15:
	s_cmp_eq_u32 s11, 1
	v_mov_b32_e32 v4, 0
	s_cselect_b32 s8, -1, 0
	s_cmpk_eq_i32 s9, 0x6f
	s_cselect_b32 s15, -1, 0
	s_cmpk_lg_i32 s9, 0x6f
	s_cselect_b32 s6, -1, 0
	s_cmp_lg_u32 s11, 1
	s_cbranch_scc0 .LBB3_19
; %bb.16:
	v_dual_mov_b32 v8, v4 :: v_dual_mov_b32 v7, v3
	s_and_not1_b32 vcc_lo, exec_lo, s6
	s_cbranch_vccnz .LBB3_18
; %bb.17:
	v_mad_u64_u32 v[7:8], null, v3, s4, 0
	s_delay_alu instid0(VALU_DEP_1) | instskip(NEXT) | instid1(VALU_DEP_1)
	v_mad_u64_u32 v[12:13], null, v3, s5, v[8:9]
	v_mov_b32_e32 v8, v12
.LBB3_18:
	s_cbranch_execz .LBB3_20
	s_branch .LBB3_23
.LBB3_19:
                                        ; implicit-def: $vgpr7_vgpr8
.LBB3_20:
	s_and_not1_b32 vcc_lo, exec_lo, s15
	s_cbranch_vccnz .LBB3_22
; %bb.21:
	v_mad_u64_u32 v[7:8], null, v3, s4, 0
	s_delay_alu instid0(VALU_DEP_1) | instskip(NEXT) | instid1(VALU_DEP_1)
	v_mov_b32_e32 v4, v8
	v_mad_u64_u32 v[12:13], null, v3, s5, v[4:5]
	s_delay_alu instid0(VALU_DEP_1) | instskip(NEXT) | instid1(VALU_DEP_1)
	v_mov_b32_e32 v8, v12
	v_dual_mov_b32 v3, v7 :: v_dual_mov_b32 v4, v8
.LBB3_22:
	s_delay_alu instid0(VALU_DEP_1)
	v_dual_mov_b32 v8, v4 :: v_dual_mov_b32 v7, v3
.LBB3_23:
	s_load_b64 s[6:7], s[0:1], 0x50
	v_dual_mov_b32 v13, 0 :: v_dual_and_b32 v12, 3, v0
	s_mov_b32 s10, exec_lo
	s_delay_alu instid0(VALU_DEP_1)
	v_cmpx_gt_i32_e64 s2, v12
	s_cbranch_execz .LBB3_27
; %bb.24:
	s_xor_b32 s3, s14, s3
	v_and_b32_e32 v13, 3, v0
	s_and_b32 s3, s3, exec_lo
	s_waitcnt lgkmcnt(0)
	s_cselect_b32 s12, 1, s12
	s_cselect_b32 s13, 0, s13
	s_xor_b32 s3, s15, s8
	v_mad_u64_u32 v[3:4], null, s12, v13, 0
	s_and_b32 s3, s3, exec_lo
	s_cselect_b32 s8, s4, 1
	s_cselect_b32 s9, s5, 0
	s_clause 0x1
	s_load_b64 s[4:5], s[0:1], 0x28
	s_load_b64 s[0:1], s[0:1], 0x38
	v_lshlrev_b64 v[7:8], 1, v[7:8]
	v_mov_b32_e32 v0, v4
	v_mad_u64_u32 v[14:15], null, s8, v13, 0
	s_delay_alu instid0(VALU_DEP_1) | instskip(NEXT) | instid1(VALU_DEP_3)
	v_mov_b32_e32 v4, v15
	v_mad_u64_u32 v[15:16], null, s13, v13, v[0:1]
	s_delay_alu instid0(VALU_DEP_2) | instskip(SKIP_1) | instid1(VALU_DEP_3)
	v_mad_u64_u32 v[16:17], null, s9, v13, v[4:5]
	v_lshlrev_b64 v[5:6], 1, v[5:6]
	v_dual_mov_b32 v13, 0 :: v_dual_mov_b32 v4, v15
	s_lshl_b64 s[8:9], s[8:9], 3
	s_delay_alu instid0(VALU_DEP_3) | instskip(NEXT) | instid1(VALU_DEP_2)
	v_mov_b32_e32 v15, v16
	v_lshlrev_b64 v[3:4], 1, v[3:4]
	s_delay_alu instid0(VALU_DEP_2) | instskip(NEXT) | instid1(VALU_DEP_2)
	v_lshlrev_b64 v[14:15], 1, v[14:15]
	v_add_co_u32 v0, vcc_lo, v3, v5
	s_delay_alu instid0(VALU_DEP_3) | instskip(NEXT) | instid1(VALU_DEP_3)
	v_add_co_ci_u32_e32 v4, vcc_lo, v4, v6, vcc_lo
	v_add_co_u32 v5, vcc_lo, v14, v7
	s_delay_alu instid0(VALU_DEP_4)
	v_add_co_ci_u32_e32 v6, vcc_lo, v15, v8, vcc_lo
	s_waitcnt lgkmcnt(0)
	v_add_co_u32 v3, vcc_lo, s4, v0
	v_add_co_ci_u32_e32 v4, vcc_lo, s5, v4, vcc_lo
	v_add_co_u32 v5, vcc_lo, s0, v5
	v_add_co_ci_u32_e32 v6, vcc_lo, s1, v6, vcc_lo
	v_mov_b32_e32 v0, v12
	s_mov_b32 s1, 0
	s_lshl_b64 s[4:5], s[12:13], 3
	.p2align	6
.LBB3_25:                               ; =>This Inner Loop Header: Depth=1
	global_load_u16 v7, v[3:4], off
	global_load_u16 v8, v[5:6], off
	v_add_nc_u32_e32 v0, 4, v0
	v_add_co_u32 v3, vcc_lo, v3, s4
	v_add_co_ci_u32_e32 v4, vcc_lo, s5, v4, vcc_lo
	v_add_co_u32 v5, vcc_lo, v5, s8
	s_delay_alu instid0(VALU_DEP_4) | instskip(SKIP_1) | instid1(VALU_DEP_2)
	v_cmp_le_i32_e64 s0, s2, v0
	v_add_co_ci_u32_e32 v6, vcc_lo, s9, v6, vcc_lo
	s_or_b32 s1, s0, s1
	s_waitcnt vmcnt(0)
	v_fmac_f16_e32 v13, v7, v8
	s_and_not1_b32 exec_lo, exec_lo, s1
	s_cbranch_execnz .LBB3_25
; %bb.26:
	s_or_b32 exec_lo, exec_lo, s1
.LBB3_27:
	s_delay_alu instid0(SALU_CYCLE_1) | instskip(SKIP_2) | instid1(VALU_DEP_1)
	s_or_b32 exec_lo, exec_lo, s10
	v_lshlrev_b32_e32 v0, 1, v12
	s_mov_b32 s0, exec_lo
	v_lshl_or_b32 v0, v11, 3, v0
	ds_store_b16 v0, v13
	s_waitcnt lgkmcnt(0)
	s_barrier
	buffer_gl0_inv
	v_cmpx_gt_u32_e32 2, v12
	s_cbranch_execz .LBB3_29
; %bb.28:
	ds_load_u16 v3, v0
	ds_load_u16 v4, v0 offset:4
	s_waitcnt lgkmcnt(0)
	v_add_f16_e32 v3, v4, v3
	ds_store_b16 v0, v3
.LBB3_29:
	s_or_b32 exec_lo, exec_lo, s0
	v_cmp_eq_u32_e32 vcc_lo, 0, v12
	v_lshlrev_b32_e32 v3, 3, v11
	s_waitcnt lgkmcnt(0)
	s_barrier
	buffer_gl0_inv
	s_and_saveexec_b32 s0, vcc_lo
	s_cbranch_execz .LBB3_31
; %bb.30:
	ds_load_u16 v4, v3 offset:2
	ds_load_u16 v5, v0
	s_waitcnt lgkmcnt(0)
	v_add_f16_e32 v4, v4, v5
	ds_store_b16 v0, v4
.LBB3_31:
	s_or_b32 exec_lo, exec_lo, s0
	s_waitcnt lgkmcnt(0)
	s_barrier
	buffer_gl0_inv
	s_and_b32 exec_lo, exec_lo, vcc_lo
	s_cbranch_execz .LBB3_33
; %bb.32:
	v_lshlrev_b64 v[0:1], 1, v[1:2]
	ds_load_u16 v3, v3
	v_add_co_u32 v0, vcc_lo, s6, v0
	v_add_co_ci_u32_e32 v1, vcc_lo, s7, v1, vcc_lo
	global_load_u16 v2, v[0:1], off
	s_waitcnt lgkmcnt(0)
	v_mul_f16_e32 v3, v9, v3
	s_waitcnt vmcnt(0)
	s_delay_alu instid0(VALU_DEP_1)
	v_fmac_f16_e32 v3, v10, v2
	global_store_b16 v[0:1], v3, off
.LBB3_33:
	s_nop 0
	s_sendmsg sendmsg(MSG_DEALLOC_VGPRS)
	s_endpgm
	.section	.rodata,"a",@progbits
	.p2align	6, 0x0
	.amdhsa_kernel _ZN9rocsparseL16sddmm_ell_kernelILi512ELi4EDF16_iiDF16_DF16_DF16_EEv20rocsparse_operation_S1_16rocsparse_order_S2_T3_S3_S3_T2_NS_24const_host_device_scalarIT1_EEPKT4_lPKT5_lS7_PT6_PKS3_21rocsparse_index_base_b
		.amdhsa_group_segment_fixed_size 1024
		.amdhsa_private_segment_fixed_size 0
		.amdhsa_kernarg_size 104
		.amdhsa_user_sgpr_count 15
		.amdhsa_user_sgpr_dispatch_ptr 0
		.amdhsa_user_sgpr_queue_ptr 0
		.amdhsa_user_sgpr_kernarg_segment_ptr 1
		.amdhsa_user_sgpr_dispatch_id 0
		.amdhsa_user_sgpr_private_segment_size 0
		.amdhsa_wavefront_size32 1
		.amdhsa_uses_dynamic_stack 0
		.amdhsa_enable_private_segment 0
		.amdhsa_system_sgpr_workgroup_id_x 1
		.amdhsa_system_sgpr_workgroup_id_y 0
		.amdhsa_system_sgpr_workgroup_id_z 0
		.amdhsa_system_sgpr_workgroup_info 0
		.amdhsa_system_vgpr_workitem_id 0
		.amdhsa_next_free_vgpr 18
		.amdhsa_next_free_sgpr 16
		.amdhsa_reserve_vcc 1
		.amdhsa_float_round_mode_32 0
		.amdhsa_float_round_mode_16_64 0
		.amdhsa_float_denorm_mode_32 3
		.amdhsa_float_denorm_mode_16_64 3
		.amdhsa_dx10_clamp 1
		.amdhsa_ieee_mode 1
		.amdhsa_fp16_overflow 0
		.amdhsa_workgroup_processor_mode 1
		.amdhsa_memory_ordered 1
		.amdhsa_forward_progress 0
		.amdhsa_shared_vgpr_count 0
		.amdhsa_exception_fp_ieee_invalid_op 0
		.amdhsa_exception_fp_denorm_src 0
		.amdhsa_exception_fp_ieee_div_zero 0
		.amdhsa_exception_fp_ieee_overflow 0
		.amdhsa_exception_fp_ieee_underflow 0
		.amdhsa_exception_fp_ieee_inexact 0
		.amdhsa_exception_int_div_zero 0
	.end_amdhsa_kernel
	.section	.text._ZN9rocsparseL16sddmm_ell_kernelILi512ELi4EDF16_iiDF16_DF16_DF16_EEv20rocsparse_operation_S1_16rocsparse_order_S2_T3_S3_S3_T2_NS_24const_host_device_scalarIT1_EEPKT4_lPKT5_lS7_PT6_PKS3_21rocsparse_index_base_b,"axG",@progbits,_ZN9rocsparseL16sddmm_ell_kernelILi512ELi4EDF16_iiDF16_DF16_DF16_EEv20rocsparse_operation_S1_16rocsparse_order_S2_T3_S3_S3_T2_NS_24const_host_device_scalarIT1_EEPKT4_lPKT5_lS7_PT6_PKS3_21rocsparse_index_base_b,comdat
.Lfunc_end3:
	.size	_ZN9rocsparseL16sddmm_ell_kernelILi512ELi4EDF16_iiDF16_DF16_DF16_EEv20rocsparse_operation_S1_16rocsparse_order_S2_T3_S3_S3_T2_NS_24const_host_device_scalarIT1_EEPKT4_lPKT5_lS7_PT6_PKS3_21rocsparse_index_base_b, .Lfunc_end3-_ZN9rocsparseL16sddmm_ell_kernelILi512ELi4EDF16_iiDF16_DF16_DF16_EEv20rocsparse_operation_S1_16rocsparse_order_S2_T3_S3_S3_T2_NS_24const_host_device_scalarIT1_EEPKT4_lPKT5_lS7_PT6_PKS3_21rocsparse_index_base_b
                                        ; -- End function
	.section	.AMDGPU.csdata,"",@progbits
; Kernel info:
; codeLenInByte = 1356
; NumSgprs: 18
; NumVgprs: 18
; ScratchSize: 0
; MemoryBound: 0
; FloatMode: 240
; IeeeMode: 1
; LDSByteSize: 1024 bytes/workgroup (compile time only)
; SGPRBlocks: 2
; VGPRBlocks: 2
; NumSGPRsForWavesPerEU: 18
; NumVGPRsForWavesPerEU: 18
; Occupancy: 16
; WaveLimiterHint : 0
; COMPUTE_PGM_RSRC2:SCRATCH_EN: 0
; COMPUTE_PGM_RSRC2:USER_SGPR: 15
; COMPUTE_PGM_RSRC2:TRAP_HANDLER: 0
; COMPUTE_PGM_RSRC2:TGID_X_EN: 1
; COMPUTE_PGM_RSRC2:TGID_Y_EN: 0
; COMPUTE_PGM_RSRC2:TGID_Z_EN: 0
; COMPUTE_PGM_RSRC2:TIDIG_COMP_CNT: 0
	.section	.text._ZN9rocsparseL16sddmm_ell_kernelILi512ELi2EDF16_iiDF16_DF16_DF16_EEv20rocsparse_operation_S1_16rocsparse_order_S2_T3_S3_S3_T2_NS_24const_host_device_scalarIT1_EEPKT4_lPKT5_lS7_PT6_PKS3_21rocsparse_index_base_b,"axG",@progbits,_ZN9rocsparseL16sddmm_ell_kernelILi512ELi2EDF16_iiDF16_DF16_DF16_EEv20rocsparse_operation_S1_16rocsparse_order_S2_T3_S3_S3_T2_NS_24const_host_device_scalarIT1_EEPKT4_lPKT5_lS7_PT6_PKS3_21rocsparse_index_base_b,comdat
	.globl	_ZN9rocsparseL16sddmm_ell_kernelILi512ELi2EDF16_iiDF16_DF16_DF16_EEv20rocsparse_operation_S1_16rocsparse_order_S2_T3_S3_S3_T2_NS_24const_host_device_scalarIT1_EEPKT4_lPKT5_lS7_PT6_PKS3_21rocsparse_index_base_b ; -- Begin function _ZN9rocsparseL16sddmm_ell_kernelILi512ELi2EDF16_iiDF16_DF16_DF16_EEv20rocsparse_operation_S1_16rocsparse_order_S2_T3_S3_S3_T2_NS_24const_host_device_scalarIT1_EEPKT4_lPKT5_lS7_PT6_PKS3_21rocsparse_index_base_b
	.p2align	8
	.type	_ZN9rocsparseL16sddmm_ell_kernelILi512ELi2EDF16_iiDF16_DF16_DF16_EEv20rocsparse_operation_S1_16rocsparse_order_S2_T3_S3_S3_T2_NS_24const_host_device_scalarIT1_EEPKT4_lPKT5_lS7_PT6_PKS3_21rocsparse_index_base_b,@function
_ZN9rocsparseL16sddmm_ell_kernelILi512ELi2EDF16_iiDF16_DF16_DF16_EEv20rocsparse_operation_S1_16rocsparse_order_S2_T3_S3_S3_T2_NS_24const_host_device_scalarIT1_EEPKT4_lPKT5_lS7_PT6_PKS3_21rocsparse_index_base_b: ; @_ZN9rocsparseL16sddmm_ell_kernelILi512ELi2EDF16_iiDF16_DF16_DF16_EEv20rocsparse_operation_S1_16rocsparse_order_S2_T3_S3_S3_T2_NS_24const_host_device_scalarIT1_EEPKT4_lPKT5_lS7_PT6_PKS3_21rocsparse_index_base_b
; %bb.0:
	s_clause 0x2
	s_load_b64 s[8:9], s[0:1], 0x60
	s_load_b64 s[2:3], s[0:1], 0x20
	s_load_b128 s[4:7], s[0:1], 0x40
	s_waitcnt lgkmcnt(0)
	s_bitcmp1_b32 s9, 0
	v_mov_b32_e32 v9, s2
	s_cselect_b32 s9, -1, 0
	s_delay_alu instid0(SALU_CYCLE_1)
	s_and_b32 vcc_lo, exec_lo, s9
	s_xor_b32 s9, s9, -1
	s_cbranch_vccnz .LBB4_2
; %bb.1:
	v_mov_b32_e32 v1, 0
	global_load_u16 v9, v1, s[2:3]
.LBB4_2:
	v_mov_b32_e32 v10, s6
	s_and_not1_b32 vcc_lo, exec_lo, s9
	s_cbranch_vccnz .LBB4_4
; %bb.3:
	v_mov_b32_e32 v1, 0
	global_load_u16 v10, v1, s[6:7]
.LBB4_4:
	s_waitcnt vmcnt(0)
	v_cmp_eq_f16_e32 vcc_lo, 0, v9
	v_cmp_eq_f16_e64 s2, 1.0, v10
	s_delay_alu instid0(VALU_DEP_1) | instskip(NEXT) | instid1(SALU_CYCLE_1)
	s_and_b32 s2, vcc_lo, s2
	s_and_b32 vcc_lo, exec_lo, s2
	s_cbranch_vccnz .LBB4_31
; %bb.5:
	s_load_b64 s[2:3], s[0:1], 0x18
	v_lshrrev_b32_e32 v11, 1, v0
	s_delay_alu instid0(VALU_DEP_1) | instskip(SKIP_1) | instid1(VALU_DEP_1)
	v_lshl_or_b32 v1, s15, 8, v11
	s_waitcnt lgkmcnt(0)
	v_cmp_gt_i32_e32 vcc_lo, s3, v1
	s_and_saveexec_b32 s3, vcc_lo
	s_cbranch_execz .LBB4_31
; %bb.6:
	s_load_b64 s[6:7], s[0:1], 0x58
	v_ashrrev_i32_e32 v2, 31, v1
	s_mov_b32 s13, -1
	s_delay_alu instid0(VALU_DEP_1) | instskip(SKIP_1) | instid1(VALU_DEP_1)
	v_lshlrev_b64 v[3:4], 2, v[1:2]
	s_waitcnt lgkmcnt(0)
	v_add_co_u32 v3, vcc_lo, s6, v3
	s_delay_alu instid0(VALU_DEP_2) | instskip(SKIP_3) | instid1(VALU_DEP_1)
	v_add_co_ci_u32_e32 v4, vcc_lo, s7, v4, vcc_lo
	global_load_b32 v3, v[3:4], off
	s_waitcnt vmcnt(0)
	v_subrev_nc_u32_e32 v3, s8, v3
	v_cmp_lt_i32_e32 vcc_lo, -1, v3
	s_and_b32 exec_lo, exec_lo, vcc_lo
	s_cbranch_execz .LBB4_31
; %bb.7:
	s_clause 0x1
	s_load_b128 s[8:11], s[0:1], 0x0
	s_load_b32 s6, s[0:1], 0x10
	v_sub_nc_u32_e32 v6, 0, v1
	s_waitcnt lgkmcnt(0)
	s_cmp_eq_u32 s10, 1
	s_cselect_b32 s3, -1, 0
	s_cmpk_eq_i32 s8, 0x6f
	s_cselect_b32 s12, -1, 0
	s_cmpk_lg_i32 s8, 0x6f
	s_cselect_b32 s8, -1, 0
	s_abs_i32 s14, s6
	s_delay_alu instid0(SALU_CYCLE_1) | instskip(SKIP_2) | instid1(VALU_DEP_1)
	v_cvt_f32_u32_e32 v4, s14
	s_sub_i32 s6, 0, s14
	s_cmp_lg_u32 s10, 1
	v_rcp_iflag_f32_e32 v4, v4
	s_waitcnt_depctr 0xfff
	v_mul_f32_e32 v4, 0x4f7ffffe, v4
	s_delay_alu instid0(VALU_DEP_1) | instskip(NEXT) | instid1(VALU_DEP_1)
	v_cvt_u32_f32_e32 v4, v4
	v_mul_lo_u32 v5, s6, v4
	s_load_b64 s[6:7], s[0:1], 0x30
	s_delay_alu instid0(VALU_DEP_1) | instskip(NEXT) | instid1(VALU_DEP_1)
	v_mul_hi_u32 v5, v4, v5
	v_add_nc_u32_e32 v4, v4, v5
	v_max_i32_e32 v5, v1, v6
	s_delay_alu instid0(VALU_DEP_1) | instskip(NEXT) | instid1(VALU_DEP_1)
	v_mul_hi_u32 v4, v5, v4
	v_mul_lo_u32 v4, v4, s14
	s_delay_alu instid0(VALU_DEP_1) | instskip(NEXT) | instid1(VALU_DEP_1)
	v_sub_nc_u32_e32 v4, v5, v4
	v_subrev_nc_u32_e32 v5, s14, v4
	v_cmp_le_u32_e32 vcc_lo, s14, v4
	s_delay_alu instid0(VALU_DEP_2) | instskip(NEXT) | instid1(VALU_DEP_1)
	v_cndmask_b32_e32 v4, v4, v5, vcc_lo
	v_subrev_nc_u32_e32 v5, s14, v4
	v_cmp_le_u32_e32 vcc_lo, s14, v4
	s_delay_alu instid0(VALU_DEP_2) | instskip(NEXT) | instid1(VALU_DEP_1)
	v_cndmask_b32_e32 v4, v4, v5, vcc_lo
	v_xor_b32_e32 v4, v4, v2
	s_delay_alu instid0(VALU_DEP_1) | instskip(NEXT) | instid1(VALU_DEP_1)
	v_sub_nc_u32_e32 v7, v4, v2
	v_ashrrev_i32_e32 v8, 31, v7
	s_cbranch_scc0 .LBB4_11
; %bb.8:
	s_delay_alu instid0(VALU_DEP_1)
	v_dual_mov_b32 v5, v7 :: v_dual_mov_b32 v6, v8
	s_and_not1_b32 vcc_lo, exec_lo, s12
	s_cbranch_vccnz .LBB4_10
; %bb.9:
	s_waitcnt lgkmcnt(0)
	v_mul_lo_u32 v4, v8, s6
	v_mul_lo_u32 v12, v7, s7
	v_mad_u64_u32 v[5:6], null, v7, s6, 0
	s_delay_alu instid0(VALU_DEP_1)
	v_add3_u32 v6, v6, v12, v4
.LBB4_10:
	s_cbranch_execz .LBB4_12
	s_branch .LBB4_15
.LBB4_11:
                                        ; implicit-def: $vgpr5_vgpr6
	s_and_not1_b32 vcc_lo, exec_lo, s13
	s_cbranch_vccnz .LBB4_15
.LBB4_12:
	s_and_not1_b32 vcc_lo, exec_lo, s8
	s_cbranch_vccnz .LBB4_14
; %bb.13:
	s_waitcnt lgkmcnt(0)
	v_mul_lo_u32 v6, v8, s6
	v_mul_lo_u32 v8, v7, s7
	v_mad_u64_u32 v[4:5], null, v7, s6, 0
	s_delay_alu instid0(VALU_DEP_1) | instskip(NEXT) | instid1(VALU_DEP_1)
	v_add3_u32 v5, v5, v8, v6
	v_dual_mov_b32 v8, v5 :: v_dual_mov_b32 v7, v4
.LBB4_14:
	s_delay_alu instid0(VALU_DEP_1)
	v_dual_mov_b32 v5, v7 :: v_dual_mov_b32 v6, v8
.LBB4_15:
	s_cmp_eq_u32 s11, 1
	v_mov_b32_e32 v4, 0
	s_cselect_b32 s13, -1, 0
	s_cmpk_eq_i32 s9, 0x6f
	s_cselect_b32 s14, -1, 0
	s_cmpk_lg_i32 s9, 0x6f
	s_cselect_b32 s8, -1, 0
	s_cmp_lg_u32 s11, 1
	s_cbranch_scc0 .LBB4_19
; %bb.16:
	v_dual_mov_b32 v8, v4 :: v_dual_mov_b32 v7, v3
	s_and_not1_b32 vcc_lo, exec_lo, s8
	s_cbranch_vccnz .LBB4_18
; %bb.17:
	v_mad_u64_u32 v[7:8], null, v3, s4, 0
	s_delay_alu instid0(VALU_DEP_1) | instskip(NEXT) | instid1(VALU_DEP_1)
	v_mad_u64_u32 v[12:13], null, v3, s5, v[8:9]
	v_mov_b32_e32 v8, v12
.LBB4_18:
	s_cbranch_execz .LBB4_20
	s_branch .LBB4_23
.LBB4_19:
                                        ; implicit-def: $vgpr7_vgpr8
.LBB4_20:
	s_and_not1_b32 vcc_lo, exec_lo, s14
	s_cbranch_vccnz .LBB4_22
; %bb.21:
	v_mad_u64_u32 v[7:8], null, v3, s4, 0
	s_delay_alu instid0(VALU_DEP_1) | instskip(NEXT) | instid1(VALU_DEP_1)
	v_mov_b32_e32 v4, v8
	v_mad_u64_u32 v[12:13], null, v3, s5, v[4:5]
	s_delay_alu instid0(VALU_DEP_1) | instskip(NEXT) | instid1(VALU_DEP_1)
	v_mov_b32_e32 v8, v12
	v_dual_mov_b32 v3, v7 :: v_dual_mov_b32 v4, v8
.LBB4_22:
	s_delay_alu instid0(VALU_DEP_1)
	v_dual_mov_b32 v8, v4 :: v_dual_mov_b32 v7, v3
.LBB4_23:
	s_load_b64 s[8:9], s[0:1], 0x50
	v_dual_mov_b32 v13, 0 :: v_dual_and_b32 v12, 1, v0
	s_mov_b32 s10, exec_lo
	s_delay_alu instid0(VALU_DEP_1)
	v_cmpx_gt_i32_e64 s2, v12
	s_cbranch_execz .LBB4_27
; %bb.24:
	s_xor_b32 s3, s12, s3
	v_and_b32_e32 v0, 1, v0
	s_and_b32 s3, s3, exec_lo
	s_waitcnt lgkmcnt(0)
	s_cselect_b32 s7, 0, s7
	s_cselect_b32 s6, 1, s6
	s_xor_b32 s3, s14, s13
	v_mul_lo_u32 v4, s7, v0
	s_and_b32 s3, s3, exec_lo
	s_cselect_b32 s13, s5, 0
	v_mul_lo_u32 v3, s6, v0
	s_cselect_b32 s12, s4, 1
	s_load_b64 s[4:5], s[0:1], 0x28
	v_mul_lo_u32 v14, s13, v0
	v_mul_lo_u32 v13, s12, v0
	s_load_b64 s[0:1], s[0:1], 0x38
	v_lshlrev_b64 v[5:6], 1, v[5:6]
	v_lshlrev_b64 v[7:8], 1, v[7:8]
	;; [unrolled: 1-line block ×3, first 2 shown]
	s_delay_alu instid0(VALU_DEP_4) | instskip(NEXT) | instid1(VALU_DEP_2)
	v_lshlrev_b64 v[13:14], 1, v[13:14]
	v_add_co_u32 v0, vcc_lo, v3, v5
	s_delay_alu instid0(VALU_DEP_3) | instskip(NEXT) | instid1(VALU_DEP_3)
	v_add_co_ci_u32_e32 v4, vcc_lo, v4, v6, vcc_lo
	v_add_co_u32 v5, vcc_lo, v13, v7
	v_mov_b32_e32 v13, 0
	v_add_co_ci_u32_e32 v6, vcc_lo, v14, v8, vcc_lo
	s_waitcnt lgkmcnt(0)
	v_add_co_u32 v3, vcc_lo, s4, v0
	v_add_co_ci_u32_e32 v4, vcc_lo, s5, v4, vcc_lo
	v_add_co_u32 v5, vcc_lo, s0, v5
	v_add_co_ci_u32_e32 v6, vcc_lo, s1, v6, vcc_lo
	v_mov_b32_e32 v0, v12
	s_mov_b32 s1, 0
	s_lshl_b64 s[4:5], s[6:7], 2
	s_lshl_b64 s[6:7], s[12:13], 2
	.p2align	6
.LBB4_25:                               ; =>This Inner Loop Header: Depth=1
	global_load_u16 v7, v[3:4], off
	global_load_u16 v8, v[5:6], off
	v_add_nc_u32_e32 v0, 2, v0
	v_add_co_u32 v3, vcc_lo, v3, s4
	v_add_co_ci_u32_e32 v4, vcc_lo, s5, v4, vcc_lo
	v_add_co_u32 v5, vcc_lo, v5, s6
	s_delay_alu instid0(VALU_DEP_4) | instskip(SKIP_1) | instid1(VALU_DEP_2)
	v_cmp_le_i32_e64 s0, s2, v0
	v_add_co_ci_u32_e32 v6, vcc_lo, s7, v6, vcc_lo
	s_or_b32 s1, s0, s1
	s_waitcnt vmcnt(0)
	v_fmac_f16_e32 v13, v7, v8
	s_and_not1_b32 exec_lo, exec_lo, s1
	s_cbranch_execnz .LBB4_25
; %bb.26:
	s_or_b32 exec_lo, exec_lo, s1
.LBB4_27:
	s_delay_alu instid0(SALU_CYCLE_1) | instskip(SKIP_2) | instid1(VALU_DEP_2)
	s_or_b32 exec_lo, exec_lo, s10
	v_lshlrev_b32_e32 v0, 2, v11
	v_cmp_eq_u32_e32 vcc_lo, 0, v12
	v_lshl_or_b32 v3, v12, 1, v0
	ds_store_b16 v3, v13
	s_waitcnt lgkmcnt(0)
	s_barrier
	buffer_gl0_inv
	s_and_saveexec_b32 s0, vcc_lo
	s_cbranch_execz .LBB4_29
; %bb.28:
	ds_load_u16 v4, v0 offset:2
	ds_load_u16 v5, v3
	s_waitcnt lgkmcnt(0)
	v_add_f16_e32 v4, v4, v5
	ds_store_b16 v3, v4
.LBB4_29:
	s_or_b32 exec_lo, exec_lo, s0
	s_waitcnt lgkmcnt(0)
	s_barrier
	buffer_gl0_inv
	s_and_b32 exec_lo, exec_lo, vcc_lo
	s_cbranch_execz .LBB4_31
; %bb.30:
	v_lshlrev_b64 v[1:2], 1, v[1:2]
	ds_load_u16 v0, v0
	v_add_co_u32 v1, vcc_lo, s8, v1
	v_add_co_ci_u32_e32 v2, vcc_lo, s9, v2, vcc_lo
	global_load_u16 v3, v[1:2], off
	s_waitcnt lgkmcnt(0)
	v_mul_f16_e32 v0, v9, v0
	s_waitcnt vmcnt(0)
	s_delay_alu instid0(VALU_DEP_1)
	v_fmac_f16_e32 v0, v10, v3
	global_store_b16 v[1:2], v0, off
.LBB4_31:
	s_nop 0
	s_sendmsg sendmsg(MSG_DEALLOC_VGPRS)
	s_endpgm
	.section	.rodata,"a",@progbits
	.p2align	6, 0x0
	.amdhsa_kernel _ZN9rocsparseL16sddmm_ell_kernelILi512ELi2EDF16_iiDF16_DF16_DF16_EEv20rocsparse_operation_S1_16rocsparse_order_S2_T3_S3_S3_T2_NS_24const_host_device_scalarIT1_EEPKT4_lPKT5_lS7_PT6_PKS3_21rocsparse_index_base_b
		.amdhsa_group_segment_fixed_size 1024
		.amdhsa_private_segment_fixed_size 0
		.amdhsa_kernarg_size 104
		.amdhsa_user_sgpr_count 15
		.amdhsa_user_sgpr_dispatch_ptr 0
		.amdhsa_user_sgpr_queue_ptr 0
		.amdhsa_user_sgpr_kernarg_segment_ptr 1
		.amdhsa_user_sgpr_dispatch_id 0
		.amdhsa_user_sgpr_private_segment_size 0
		.amdhsa_wavefront_size32 1
		.amdhsa_uses_dynamic_stack 0
		.amdhsa_enable_private_segment 0
		.amdhsa_system_sgpr_workgroup_id_x 1
		.amdhsa_system_sgpr_workgroup_id_y 0
		.amdhsa_system_sgpr_workgroup_id_z 0
		.amdhsa_system_sgpr_workgroup_info 0
		.amdhsa_system_vgpr_workitem_id 0
		.amdhsa_next_free_vgpr 15
		.amdhsa_next_free_sgpr 16
		.amdhsa_reserve_vcc 1
		.amdhsa_float_round_mode_32 0
		.amdhsa_float_round_mode_16_64 0
		.amdhsa_float_denorm_mode_32 3
		.amdhsa_float_denorm_mode_16_64 3
		.amdhsa_dx10_clamp 1
		.amdhsa_ieee_mode 1
		.amdhsa_fp16_overflow 0
		.amdhsa_workgroup_processor_mode 1
		.amdhsa_memory_ordered 1
		.amdhsa_forward_progress 0
		.amdhsa_shared_vgpr_count 0
		.amdhsa_exception_fp_ieee_invalid_op 0
		.amdhsa_exception_fp_denorm_src 0
		.amdhsa_exception_fp_ieee_div_zero 0
		.amdhsa_exception_fp_ieee_overflow 0
		.amdhsa_exception_fp_ieee_underflow 0
		.amdhsa_exception_fp_ieee_inexact 0
		.amdhsa_exception_int_div_zero 0
	.end_amdhsa_kernel
	.section	.text._ZN9rocsparseL16sddmm_ell_kernelILi512ELi2EDF16_iiDF16_DF16_DF16_EEv20rocsparse_operation_S1_16rocsparse_order_S2_T3_S3_S3_T2_NS_24const_host_device_scalarIT1_EEPKT4_lPKT5_lS7_PT6_PKS3_21rocsparse_index_base_b,"axG",@progbits,_ZN9rocsparseL16sddmm_ell_kernelILi512ELi2EDF16_iiDF16_DF16_DF16_EEv20rocsparse_operation_S1_16rocsparse_order_S2_T3_S3_S3_T2_NS_24const_host_device_scalarIT1_EEPKT4_lPKT5_lS7_PT6_PKS3_21rocsparse_index_base_b,comdat
.Lfunc_end4:
	.size	_ZN9rocsparseL16sddmm_ell_kernelILi512ELi2EDF16_iiDF16_DF16_DF16_EEv20rocsparse_operation_S1_16rocsparse_order_S2_T3_S3_S3_T2_NS_24const_host_device_scalarIT1_EEPKT4_lPKT5_lS7_PT6_PKS3_21rocsparse_index_base_b, .Lfunc_end4-_ZN9rocsparseL16sddmm_ell_kernelILi512ELi2EDF16_iiDF16_DF16_DF16_EEv20rocsparse_operation_S1_16rocsparse_order_S2_T3_S3_S3_T2_NS_24const_host_device_scalarIT1_EEPKT4_lPKT5_lS7_PT6_PKS3_21rocsparse_index_base_b
                                        ; -- End function
	.section	.AMDGPU.csdata,"",@progbits
; Kernel info:
; codeLenInByte = 1252
; NumSgprs: 18
; NumVgprs: 15
; ScratchSize: 0
; MemoryBound: 0
; FloatMode: 240
; IeeeMode: 1
; LDSByteSize: 1024 bytes/workgroup (compile time only)
; SGPRBlocks: 2
; VGPRBlocks: 1
; NumSGPRsForWavesPerEU: 18
; NumVGPRsForWavesPerEU: 15
; Occupancy: 16
; WaveLimiterHint : 0
; COMPUTE_PGM_RSRC2:SCRATCH_EN: 0
; COMPUTE_PGM_RSRC2:USER_SGPR: 15
; COMPUTE_PGM_RSRC2:TRAP_HANDLER: 0
; COMPUTE_PGM_RSRC2:TGID_X_EN: 1
; COMPUTE_PGM_RSRC2:TGID_Y_EN: 0
; COMPUTE_PGM_RSRC2:TGID_Z_EN: 0
; COMPUTE_PGM_RSRC2:TIDIG_COMP_CNT: 0
	.section	.text._ZN9rocsparseL16sddmm_ell_kernelILi512ELi1EDF16_iiDF16_DF16_DF16_EEv20rocsparse_operation_S1_16rocsparse_order_S2_T3_S3_S3_T2_NS_24const_host_device_scalarIT1_EEPKT4_lPKT5_lS7_PT6_PKS3_21rocsparse_index_base_b,"axG",@progbits,_ZN9rocsparseL16sddmm_ell_kernelILi512ELi1EDF16_iiDF16_DF16_DF16_EEv20rocsparse_operation_S1_16rocsparse_order_S2_T3_S3_S3_T2_NS_24const_host_device_scalarIT1_EEPKT4_lPKT5_lS7_PT6_PKS3_21rocsparse_index_base_b,comdat
	.globl	_ZN9rocsparseL16sddmm_ell_kernelILi512ELi1EDF16_iiDF16_DF16_DF16_EEv20rocsparse_operation_S1_16rocsparse_order_S2_T3_S3_S3_T2_NS_24const_host_device_scalarIT1_EEPKT4_lPKT5_lS7_PT6_PKS3_21rocsparse_index_base_b ; -- Begin function _ZN9rocsparseL16sddmm_ell_kernelILi512ELi1EDF16_iiDF16_DF16_DF16_EEv20rocsparse_operation_S1_16rocsparse_order_S2_T3_S3_S3_T2_NS_24const_host_device_scalarIT1_EEPKT4_lPKT5_lS7_PT6_PKS3_21rocsparse_index_base_b
	.p2align	8
	.type	_ZN9rocsparseL16sddmm_ell_kernelILi512ELi1EDF16_iiDF16_DF16_DF16_EEv20rocsparse_operation_S1_16rocsparse_order_S2_T3_S3_S3_T2_NS_24const_host_device_scalarIT1_EEPKT4_lPKT5_lS7_PT6_PKS3_21rocsparse_index_base_b,@function
_ZN9rocsparseL16sddmm_ell_kernelILi512ELi1EDF16_iiDF16_DF16_DF16_EEv20rocsparse_operation_S1_16rocsparse_order_S2_T3_S3_S3_T2_NS_24const_host_device_scalarIT1_EEPKT4_lPKT5_lS7_PT6_PKS3_21rocsparse_index_base_b: ; @_ZN9rocsparseL16sddmm_ell_kernelILi512ELi1EDF16_iiDF16_DF16_DF16_EEv20rocsparse_operation_S1_16rocsparse_order_S2_T3_S3_S3_T2_NS_24const_host_device_scalarIT1_EEPKT4_lPKT5_lS7_PT6_PKS3_21rocsparse_index_base_b
; %bb.0:
	s_clause 0x2
	s_load_b64 s[8:9], s[0:1], 0x60
	s_load_b64 s[2:3], s[0:1], 0x20
	s_load_b128 s[4:7], s[0:1], 0x40
	s_waitcnt lgkmcnt(0)
	s_bitcmp1_b32 s9, 0
	v_mov_b32_e32 v9, s2
	s_cselect_b32 s9, -1, 0
	s_delay_alu instid0(SALU_CYCLE_1)
	s_and_b32 vcc_lo, exec_lo, s9
	s_xor_b32 s9, s9, -1
	s_cbranch_vccnz .LBB5_2
; %bb.1:
	v_mov_b32_e32 v1, 0
	global_load_u16 v9, v1, s[2:3]
.LBB5_2:
	v_mov_b32_e32 v10, s6
	s_and_not1_b32 vcc_lo, exec_lo, s9
	s_cbranch_vccnz .LBB5_4
; %bb.3:
	v_mov_b32_e32 v1, 0
	global_load_u16 v10, v1, s[6:7]
.LBB5_4:
	s_waitcnt vmcnt(0)
	v_cmp_eq_f16_e32 vcc_lo, 0, v9
	v_cmp_eq_f16_e64 s2, 1.0, v10
	s_delay_alu instid0(VALU_DEP_1) | instskip(NEXT) | instid1(SALU_CYCLE_1)
	s_and_b32 s2, vcc_lo, s2
	s_and_b32 vcc_lo, exec_lo, s2
	s_cbranch_vccnz .LBB5_28
; %bb.5:
	s_load_b64 s[2:3], s[0:1], 0x18
	v_lshl_or_b32 v1, s15, 9, v0
	s_waitcnt lgkmcnt(0)
	s_delay_alu instid0(VALU_DEP_1)
	v_cmp_gt_i32_e32 vcc_lo, s3, v1
	s_and_saveexec_b32 s3, vcc_lo
	s_cbranch_execz .LBB5_28
; %bb.6:
	s_load_b64 s[6:7], s[0:1], 0x58
	v_ashrrev_i32_e32 v2, 31, v1
	s_mov_b32 s13, -1
	s_delay_alu instid0(VALU_DEP_1) | instskip(SKIP_1) | instid1(VALU_DEP_1)
	v_lshlrev_b64 v[3:4], 2, v[1:2]
	s_waitcnt lgkmcnt(0)
	v_add_co_u32 v3, vcc_lo, s6, v3
	s_delay_alu instid0(VALU_DEP_2) | instskip(SKIP_3) | instid1(VALU_DEP_1)
	v_add_co_ci_u32_e32 v4, vcc_lo, s7, v4, vcc_lo
	global_load_b32 v3, v[3:4], off
	s_waitcnt vmcnt(0)
	v_subrev_nc_u32_e32 v3, s8, v3
	v_cmp_lt_i32_e32 vcc_lo, -1, v3
	s_and_b32 exec_lo, exec_lo, vcc_lo
	s_cbranch_execz .LBB5_28
; %bb.7:
	s_clause 0x1
	s_load_b128 s[8:11], s[0:1], 0x0
	s_load_b32 s6, s[0:1], 0x10
	v_sub_nc_u32_e32 v6, 0, v1
	s_waitcnt lgkmcnt(0)
	s_cmp_eq_u32 s10, 1
	s_cselect_b32 s3, -1, 0
	s_cmpk_eq_i32 s8, 0x6f
	s_cselect_b32 s12, -1, 0
	s_cmpk_lg_i32 s8, 0x6f
	s_cselect_b32 s8, -1, 0
	s_abs_i32 s14, s6
	s_delay_alu instid0(SALU_CYCLE_1) | instskip(SKIP_2) | instid1(VALU_DEP_1)
	v_cvt_f32_u32_e32 v4, s14
	s_sub_i32 s6, 0, s14
	s_cmp_lg_u32 s10, 1
	v_rcp_iflag_f32_e32 v4, v4
	s_waitcnt_depctr 0xfff
	v_mul_f32_e32 v4, 0x4f7ffffe, v4
	s_delay_alu instid0(VALU_DEP_1) | instskip(NEXT) | instid1(VALU_DEP_1)
	v_cvt_u32_f32_e32 v4, v4
	v_mul_lo_u32 v5, s6, v4
	s_load_b64 s[6:7], s[0:1], 0x30
	s_delay_alu instid0(VALU_DEP_1) | instskip(NEXT) | instid1(VALU_DEP_1)
	v_mul_hi_u32 v5, v4, v5
	v_add_nc_u32_e32 v4, v4, v5
	v_max_i32_e32 v5, v1, v6
	s_delay_alu instid0(VALU_DEP_1) | instskip(NEXT) | instid1(VALU_DEP_1)
	v_mul_hi_u32 v4, v5, v4
	v_mul_lo_u32 v4, v4, s14
	s_delay_alu instid0(VALU_DEP_1) | instskip(NEXT) | instid1(VALU_DEP_1)
	v_sub_nc_u32_e32 v4, v5, v4
	v_subrev_nc_u32_e32 v5, s14, v4
	v_cmp_le_u32_e32 vcc_lo, s14, v4
	s_delay_alu instid0(VALU_DEP_2) | instskip(NEXT) | instid1(VALU_DEP_1)
	v_cndmask_b32_e32 v4, v4, v5, vcc_lo
	v_subrev_nc_u32_e32 v5, s14, v4
	v_cmp_le_u32_e32 vcc_lo, s14, v4
	s_delay_alu instid0(VALU_DEP_2) | instskip(NEXT) | instid1(VALU_DEP_1)
	v_cndmask_b32_e32 v4, v4, v5, vcc_lo
	v_xor_b32_e32 v4, v4, v2
	s_delay_alu instid0(VALU_DEP_1) | instskip(NEXT) | instid1(VALU_DEP_1)
	v_sub_nc_u32_e32 v7, v4, v2
	v_ashrrev_i32_e32 v8, 31, v7
	s_cbranch_scc0 .LBB5_11
; %bb.8:
	s_delay_alu instid0(VALU_DEP_1)
	v_dual_mov_b32 v5, v7 :: v_dual_mov_b32 v6, v8
	s_and_not1_b32 vcc_lo, exec_lo, s12
	s_cbranch_vccnz .LBB5_10
; %bb.9:
	s_waitcnt lgkmcnt(0)
	v_mul_lo_u32 v4, v8, s6
	v_mul_lo_u32 v11, v7, s7
	v_mad_u64_u32 v[5:6], null, v7, s6, 0
	s_delay_alu instid0(VALU_DEP_1)
	v_add3_u32 v6, v6, v11, v4
.LBB5_10:
	s_cbranch_execz .LBB5_12
	s_branch .LBB5_15
.LBB5_11:
                                        ; implicit-def: $vgpr5_vgpr6
	s_and_not1_b32 vcc_lo, exec_lo, s13
	s_cbranch_vccnz .LBB5_15
.LBB5_12:
	s_and_not1_b32 vcc_lo, exec_lo, s8
	s_cbranch_vccnz .LBB5_14
; %bb.13:
	s_waitcnt lgkmcnt(0)
	v_mul_lo_u32 v6, v8, s6
	v_mul_lo_u32 v8, v7, s7
	v_mad_u64_u32 v[4:5], null, v7, s6, 0
	s_delay_alu instid0(VALU_DEP_1) | instskip(NEXT) | instid1(VALU_DEP_1)
	v_add3_u32 v5, v5, v8, v6
	v_dual_mov_b32 v8, v5 :: v_dual_mov_b32 v7, v4
.LBB5_14:
	s_delay_alu instid0(VALU_DEP_1)
	v_dual_mov_b32 v5, v7 :: v_dual_mov_b32 v6, v8
.LBB5_15:
	s_cmp_eq_u32 s11, 1
	v_mov_b32_e32 v4, 0
	s_cselect_b32 s10, -1, 0
	s_cmpk_eq_i32 s9, 0x6f
	s_cselect_b32 s13, -1, 0
	s_cmpk_lg_i32 s9, 0x6f
	s_cselect_b32 s8, -1, 0
	s_cmp_lg_u32 s11, 1
	s_cbranch_scc0 .LBB5_19
; %bb.16:
	v_dual_mov_b32 v8, v4 :: v_dual_mov_b32 v7, v3
	s_and_not1_b32 vcc_lo, exec_lo, s8
	s_cbranch_vccnz .LBB5_18
; %bb.17:
	v_mad_u64_u32 v[7:8], null, v3, s4, 0
	s_delay_alu instid0(VALU_DEP_1) | instskip(NEXT) | instid1(VALU_DEP_1)
	v_mad_u64_u32 v[11:12], null, v3, s5, v[8:9]
	v_mov_b32_e32 v8, v11
.LBB5_18:
	s_cbranch_execz .LBB5_20
	s_branch .LBB5_23
.LBB5_19:
                                        ; implicit-def: $vgpr7_vgpr8
.LBB5_20:
	s_and_not1_b32 vcc_lo, exec_lo, s13
	s_cbranch_vccnz .LBB5_22
; %bb.21:
	v_mad_u64_u32 v[7:8], null, v3, s4, 0
	s_delay_alu instid0(VALU_DEP_1) | instskip(NEXT) | instid1(VALU_DEP_1)
	v_mov_b32_e32 v4, v8
	v_mad_u64_u32 v[11:12], null, v3, s5, v[4:5]
	s_delay_alu instid0(VALU_DEP_1) | instskip(NEXT) | instid1(VALU_DEP_1)
	v_mov_b32_e32 v8, v11
	v_dual_mov_b32 v3, v7 :: v_dual_mov_b32 v4, v8
.LBB5_22:
	s_delay_alu instid0(VALU_DEP_1)
	v_dual_mov_b32 v8, v4 :: v_dual_mov_b32 v7, v3
.LBB5_23:
	s_load_b64 s[8:9], s[0:1], 0x50
	s_cmp_lt_i32 s2, 1
	s_cbranch_scc1 .LBB5_26
; %bb.24:
	s_clause 0x1
	s_load_b64 s[14:15], s[0:1], 0x38
	s_load_b64 s[0:1], s[0:1], 0x28
	v_lshlrev_b64 v[3:4], 1, v[7:8]
	v_lshlrev_b64 v[5:6], 1, v[5:6]
	s_xor_b32 s3, s12, s3
	v_mov_b32_e32 v7, 0
	s_and_b32 s3, s3, exec_lo
	s_waitcnt lgkmcnt(0)
	s_cselect_b32 s7, 0, s7
	s_cselect_b32 s6, 1, s6
	s_xor_b32 s3, s13, s10
	s_delay_alu instid0(SALU_CYCLE_1) | instskip(SKIP_2) | instid1(SALU_CYCLE_1)
	s_and_b32 s3, s3, exec_lo
	s_cselect_b32 s5, s5, 0
	s_cselect_b32 s4, s4, 1
	s_lshl_b64 s[4:5], s[4:5], 1
	v_add_co_u32 v3, vcc_lo, s14, v3
	v_add_co_ci_u32_e32 v4, vcc_lo, s15, v4, vcc_lo
	v_add_co_u32 v5, vcc_lo, s0, v5
	v_add_co_ci_u32_e32 v6, vcc_lo, s1, v6, vcc_lo
	s_lshl_b64 s[0:1], s[6:7], 1
.LBB5_25:                               ; =>This Inner Loop Header: Depth=1
	global_load_u16 v8, v[5:6], off
	global_load_u16 v11, v[3:4], off
	v_add_co_u32 v5, vcc_lo, v5, s0
	v_add_co_ci_u32_e32 v6, vcc_lo, s1, v6, vcc_lo
	v_add_co_u32 v3, vcc_lo, v3, s4
	v_add_co_ci_u32_e32 v4, vcc_lo, s5, v4, vcc_lo
	s_add_i32 s2, s2, -1
	s_delay_alu instid0(SALU_CYCLE_1)
	s_cmp_eq_u32 s2, 0
	s_waitcnt vmcnt(0)
	v_fmac_f16_e32 v7, v8, v11
	s_cbranch_scc0 .LBB5_25
	s_branch .LBB5_27
.LBB5_26:
	v_mov_b32_e32 v7, 0
.LBB5_27:
	v_lshlrev_b64 v[1:2], 1, v[1:2]
	v_lshlrev_b32_e32 v3, 1, v0
	ds_store_b16 v3, v7
	s_waitcnt lgkmcnt(0)
	v_add_co_u32 v0, vcc_lo, s8, v1
	v_add_co_ci_u32_e32 v1, vcc_lo, s9, v2, vcc_lo
	s_barrier
	buffer_gl0_inv
	global_load_u16 v2, v[0:1], off
	ds_load_u16 v3, v3
	s_waitcnt lgkmcnt(0)
	v_mul_f16_e32 v3, v9, v3
	s_waitcnt vmcnt(0)
	s_delay_alu instid0(VALU_DEP_1)
	v_fmac_f16_e32 v3, v10, v2
	global_store_b16 v[0:1], v3, off
.LBB5_28:
	s_nop 0
	s_sendmsg sendmsg(MSG_DEALLOC_VGPRS)
	s_endpgm
	.section	.rodata,"a",@progbits
	.p2align	6, 0x0
	.amdhsa_kernel _ZN9rocsparseL16sddmm_ell_kernelILi512ELi1EDF16_iiDF16_DF16_DF16_EEv20rocsparse_operation_S1_16rocsparse_order_S2_T3_S3_S3_T2_NS_24const_host_device_scalarIT1_EEPKT4_lPKT5_lS7_PT6_PKS3_21rocsparse_index_base_b
		.amdhsa_group_segment_fixed_size 1024
		.amdhsa_private_segment_fixed_size 0
		.amdhsa_kernarg_size 104
		.amdhsa_user_sgpr_count 15
		.amdhsa_user_sgpr_dispatch_ptr 0
		.amdhsa_user_sgpr_queue_ptr 0
		.amdhsa_user_sgpr_kernarg_segment_ptr 1
		.amdhsa_user_sgpr_dispatch_id 0
		.amdhsa_user_sgpr_private_segment_size 0
		.amdhsa_wavefront_size32 1
		.amdhsa_uses_dynamic_stack 0
		.amdhsa_enable_private_segment 0
		.amdhsa_system_sgpr_workgroup_id_x 1
		.amdhsa_system_sgpr_workgroup_id_y 0
		.amdhsa_system_sgpr_workgroup_id_z 0
		.amdhsa_system_sgpr_workgroup_info 0
		.amdhsa_system_vgpr_workitem_id 0
		.amdhsa_next_free_vgpr 13
		.amdhsa_next_free_sgpr 16
		.amdhsa_reserve_vcc 1
		.amdhsa_float_round_mode_32 0
		.amdhsa_float_round_mode_16_64 0
		.amdhsa_float_denorm_mode_32 3
		.amdhsa_float_denorm_mode_16_64 3
		.amdhsa_dx10_clamp 1
		.amdhsa_ieee_mode 1
		.amdhsa_fp16_overflow 0
		.amdhsa_workgroup_processor_mode 1
		.amdhsa_memory_ordered 1
		.amdhsa_forward_progress 0
		.amdhsa_shared_vgpr_count 0
		.amdhsa_exception_fp_ieee_invalid_op 0
		.amdhsa_exception_fp_denorm_src 0
		.amdhsa_exception_fp_ieee_div_zero 0
		.amdhsa_exception_fp_ieee_overflow 0
		.amdhsa_exception_fp_ieee_underflow 0
		.amdhsa_exception_fp_ieee_inexact 0
		.amdhsa_exception_int_div_zero 0
	.end_amdhsa_kernel
	.section	.text._ZN9rocsparseL16sddmm_ell_kernelILi512ELi1EDF16_iiDF16_DF16_DF16_EEv20rocsparse_operation_S1_16rocsparse_order_S2_T3_S3_S3_T2_NS_24const_host_device_scalarIT1_EEPKT4_lPKT5_lS7_PT6_PKS3_21rocsparse_index_base_b,"axG",@progbits,_ZN9rocsparseL16sddmm_ell_kernelILi512ELi1EDF16_iiDF16_DF16_DF16_EEv20rocsparse_operation_S1_16rocsparse_order_S2_T3_S3_S3_T2_NS_24const_host_device_scalarIT1_EEPKT4_lPKT5_lS7_PT6_PKS3_21rocsparse_index_base_b,comdat
.Lfunc_end5:
	.size	_ZN9rocsparseL16sddmm_ell_kernelILi512ELi1EDF16_iiDF16_DF16_DF16_EEv20rocsparse_operation_S1_16rocsparse_order_S2_T3_S3_S3_T2_NS_24const_host_device_scalarIT1_EEPKT4_lPKT5_lS7_PT6_PKS3_21rocsparse_index_base_b, .Lfunc_end5-_ZN9rocsparseL16sddmm_ell_kernelILi512ELi1EDF16_iiDF16_DF16_DF16_EEv20rocsparse_operation_S1_16rocsparse_order_S2_T3_S3_S3_T2_NS_24const_host_device_scalarIT1_EEPKT4_lPKT5_lS7_PT6_PKS3_21rocsparse_index_base_b
                                        ; -- End function
	.section	.AMDGPU.csdata,"",@progbits
; Kernel info:
; codeLenInByte = 1044
; NumSgprs: 18
; NumVgprs: 13
; ScratchSize: 0
; MemoryBound: 0
; FloatMode: 240
; IeeeMode: 1
; LDSByteSize: 1024 bytes/workgroup (compile time only)
; SGPRBlocks: 2
; VGPRBlocks: 1
; NumSGPRsForWavesPerEU: 18
; NumVGPRsForWavesPerEU: 13
; Occupancy: 16
; WaveLimiterHint : 0
; COMPUTE_PGM_RSRC2:SCRATCH_EN: 0
; COMPUTE_PGM_RSRC2:USER_SGPR: 15
; COMPUTE_PGM_RSRC2:TRAP_HANDLER: 0
; COMPUTE_PGM_RSRC2:TGID_X_EN: 1
; COMPUTE_PGM_RSRC2:TGID_Y_EN: 0
; COMPUTE_PGM_RSRC2:TGID_Z_EN: 0
; COMPUTE_PGM_RSRC2:TIDIG_COMP_CNT: 0
	.section	.text._ZN9rocsparseL23sddmm_ell_sample_kernelILi16ELi32EfifEEvT2_S1_PKT3_lS1_PS2_PKS1_21rocsparse_index_base_,"axG",@progbits,_ZN9rocsparseL23sddmm_ell_sample_kernelILi16ELi32EfifEEvT2_S1_PKT3_lS1_PS2_PKS1_21rocsparse_index_base_,comdat
	.globl	_ZN9rocsparseL23sddmm_ell_sample_kernelILi16ELi32EfifEEvT2_S1_PKT3_lS1_PS2_PKS1_21rocsparse_index_base_ ; -- Begin function _ZN9rocsparseL23sddmm_ell_sample_kernelILi16ELi32EfifEEvT2_S1_PKT3_lS1_PS2_PKS1_21rocsparse_index_base_
	.p2align	8
	.type	_ZN9rocsparseL23sddmm_ell_sample_kernelILi16ELi32EfifEEvT2_S1_PKT3_lS1_PS2_PKS1_21rocsparse_index_base_,@function
_ZN9rocsparseL23sddmm_ell_sample_kernelILi16ELi32EfifEEvT2_S1_PKT3_lS1_PS2_PKS1_21rocsparse_index_base_: ; @_ZN9rocsparseL23sddmm_ell_sample_kernelILi16ELi32EfifEEvT2_S1_PKT3_lS1_PS2_PKS1_21rocsparse_index_base_
; %bb.0:
	s_load_b32 s2, s[0:1], 0x18
	v_lshrrev_b32_e32 v1, 5, v0
	s_delay_alu instid0(VALU_DEP_1) | instskip(SKIP_1) | instid1(VALU_DEP_1)
	v_lshl_or_b32 v1, s15, 4, v1
	s_waitcnt lgkmcnt(0)
	v_cmp_gt_u32_e32 vcc_lo, s2, v1
	s_and_saveexec_b32 s2, vcc_lo
	s_cbranch_execz .LBB6_6
; %bb.1:
	s_load_b64 s[2:3], s[0:1], 0x0
	v_and_b32_e32 v6, 31, v0
	s_waitcnt lgkmcnt(0)
	s_delay_alu instid0(VALU_DEP_1)
	v_cmp_gt_i32_e32 vcc_lo, s2, v6
	s_and_b32 exec_lo, exec_lo, vcc_lo
	s_cbranch_execz .LBB6_6
; %bb.2:
	s_clause 0x2
	s_load_b128 s[8:11], s[0:1], 0x8
	s_load_b128 s[4:7], s[0:1], 0x20
	s_load_b32 s1, s[0:1], 0x30
	v_and_b32_e32 v0, 31, v0
	v_mul_lo_u32 v7, v1, s2
	s_delay_alu instid0(VALU_DEP_2) | instskip(SKIP_1) | instid1(VALU_DEP_1)
	v_dual_mov_b32 v1, 0 :: v_dual_lshlrev_b32 v0, 2, v0
	s_waitcnt lgkmcnt(0)
	v_add_co_u32 v2, s0, s8, v0
	s_delay_alu instid0(VALU_DEP_1)
	v_add_co_ci_u32_e64 v3, null, s9, 0, s0
	s_lshl_b64 s[8:9], s[10:11], 2
	s_mov_b32 s10, 0
	s_set_inst_prefetch_distance 0x1
	s_branch .LBB6_4
	.p2align	6
.LBB6_3:                                ;   in Loop: Header=BB6_4 Depth=1
	s_or_b32 exec_lo, exec_lo, s0
	v_add_nc_u32_e32 v6, 32, v6
	v_add_co_u32 v2, s0, 0x80, v2
	s_delay_alu instid0(VALU_DEP_1) | instskip(NEXT) | instid1(VALU_DEP_3)
	v_add_co_ci_u32_e64 v3, s0, 0, v3, s0
	v_cmp_le_i32_e32 vcc_lo, s2, v6
	s_or_b32 s10, vcc_lo, s10
	s_delay_alu instid0(SALU_CYCLE_1)
	s_and_not1_b32 exec_lo, exec_lo, s10
	s_cbranch_execz .LBB6_6
.LBB6_4:                                ; =>This Inner Loop Header: Depth=1
	v_add_nc_u32_e32 v0, v7, v6
	s_delay_alu instid0(VALU_DEP_1) | instskip(NEXT) | instid1(VALU_DEP_1)
	v_lshlrev_b64 v[4:5], 2, v[0:1]
	v_add_co_u32 v8, vcc_lo, s6, v4
	s_delay_alu instid0(VALU_DEP_2) | instskip(SKIP_3) | instid1(VALU_DEP_1)
	v_add_co_ci_u32_e32 v9, vcc_lo, s7, v5, vcc_lo
	global_load_b32 v0, v[8:9], off
	s_waitcnt vmcnt(0)
	v_subrev_nc_u32_e32 v0, s1, v0
	v_cmp_lt_i32_e32 vcc_lo, -1, v0
	v_cmp_gt_i32_e64 s0, s3, v0
	s_delay_alu instid0(VALU_DEP_1) | instskip(NEXT) | instid1(SALU_CYCLE_1)
	s_and_b32 s11, vcc_lo, s0
	s_and_saveexec_b32 s0, s11
	s_cbranch_execz .LBB6_3
; %bb.5:                                ;   in Loop: Header=BB6_4 Depth=1
	v_mad_u64_u32 v[8:9], null, s8, v0, v[2:3]
	v_add_co_u32 v4, vcc_lo, s4, v4
	v_add_co_ci_u32_e32 v5, vcc_lo, s5, v5, vcc_lo
	s_delay_alu instid0(VALU_DEP_3) | instskip(NEXT) | instid1(VALU_DEP_1)
	v_mad_u64_u32 v[10:11], null, s9, v0, v[9:10]
	v_mov_b32_e32 v9, v10
	global_load_b32 v0, v[8:9], off
	s_waitcnt vmcnt(0)
	global_store_b32 v[4:5], v0, off
	s_branch .LBB6_3
.LBB6_6:
	s_set_inst_prefetch_distance 0x2
	s_nop 0
	s_sendmsg sendmsg(MSG_DEALLOC_VGPRS)
	s_endpgm
	.section	.rodata,"a",@progbits
	.p2align	6, 0x0
	.amdhsa_kernel _ZN9rocsparseL23sddmm_ell_sample_kernelILi16ELi32EfifEEvT2_S1_PKT3_lS1_PS2_PKS1_21rocsparse_index_base_
		.amdhsa_group_segment_fixed_size 0
		.amdhsa_private_segment_fixed_size 0
		.amdhsa_kernarg_size 52
		.amdhsa_user_sgpr_count 15
		.amdhsa_user_sgpr_dispatch_ptr 0
		.amdhsa_user_sgpr_queue_ptr 0
		.amdhsa_user_sgpr_kernarg_segment_ptr 1
		.amdhsa_user_sgpr_dispatch_id 0
		.amdhsa_user_sgpr_private_segment_size 0
		.amdhsa_wavefront_size32 1
		.amdhsa_uses_dynamic_stack 0
		.amdhsa_enable_private_segment 0
		.amdhsa_system_sgpr_workgroup_id_x 1
		.amdhsa_system_sgpr_workgroup_id_y 0
		.amdhsa_system_sgpr_workgroup_id_z 0
		.amdhsa_system_sgpr_workgroup_info 0
		.amdhsa_system_vgpr_workitem_id 0
		.amdhsa_next_free_vgpr 12
		.amdhsa_next_free_sgpr 16
		.amdhsa_reserve_vcc 1
		.amdhsa_float_round_mode_32 0
		.amdhsa_float_round_mode_16_64 0
		.amdhsa_float_denorm_mode_32 3
		.amdhsa_float_denorm_mode_16_64 3
		.amdhsa_dx10_clamp 1
		.amdhsa_ieee_mode 1
		.amdhsa_fp16_overflow 0
		.amdhsa_workgroup_processor_mode 1
		.amdhsa_memory_ordered 1
		.amdhsa_forward_progress 0
		.amdhsa_shared_vgpr_count 0
		.amdhsa_exception_fp_ieee_invalid_op 0
		.amdhsa_exception_fp_denorm_src 0
		.amdhsa_exception_fp_ieee_div_zero 0
		.amdhsa_exception_fp_ieee_overflow 0
		.amdhsa_exception_fp_ieee_underflow 0
		.amdhsa_exception_fp_ieee_inexact 0
		.amdhsa_exception_int_div_zero 0
	.end_amdhsa_kernel
	.section	.text._ZN9rocsparseL23sddmm_ell_sample_kernelILi16ELi32EfifEEvT2_S1_PKT3_lS1_PS2_PKS1_21rocsparse_index_base_,"axG",@progbits,_ZN9rocsparseL23sddmm_ell_sample_kernelILi16ELi32EfifEEvT2_S1_PKT3_lS1_PS2_PKS1_21rocsparse_index_base_,comdat
.Lfunc_end6:
	.size	_ZN9rocsparseL23sddmm_ell_sample_kernelILi16ELi32EfifEEvT2_S1_PKT3_lS1_PS2_PKS1_21rocsparse_index_base_, .Lfunc_end6-_ZN9rocsparseL23sddmm_ell_sample_kernelILi16ELi32EfifEEvT2_S1_PKT3_lS1_PS2_PKS1_21rocsparse_index_base_
                                        ; -- End function
	.section	.AMDGPU.csdata,"",@progbits
; Kernel info:
; codeLenInByte = 368
; NumSgprs: 18
; NumVgprs: 12
; ScratchSize: 0
; MemoryBound: 0
; FloatMode: 240
; IeeeMode: 1
; LDSByteSize: 0 bytes/workgroup (compile time only)
; SGPRBlocks: 2
; VGPRBlocks: 1
; NumSGPRsForWavesPerEU: 18
; NumVGPRsForWavesPerEU: 12
; Occupancy: 16
; WaveLimiterHint : 1
; COMPUTE_PGM_RSRC2:SCRATCH_EN: 0
; COMPUTE_PGM_RSRC2:USER_SGPR: 15
; COMPUTE_PGM_RSRC2:TRAP_HANDLER: 0
; COMPUTE_PGM_RSRC2:TGID_X_EN: 1
; COMPUTE_PGM_RSRC2:TGID_Y_EN: 0
; COMPUTE_PGM_RSRC2:TGID_Z_EN: 0
; COMPUTE_PGM_RSRC2:TIDIG_COMP_CNT: 0
	.section	.text._ZN9rocsparseL23sddmm_ell_sample_kernelILi16ELi64EfifEEvT2_S1_PKT3_lS1_PS2_PKS1_21rocsparse_index_base_,"axG",@progbits,_ZN9rocsparseL23sddmm_ell_sample_kernelILi16ELi64EfifEEvT2_S1_PKT3_lS1_PS2_PKS1_21rocsparse_index_base_,comdat
	.globl	_ZN9rocsparseL23sddmm_ell_sample_kernelILi16ELi64EfifEEvT2_S1_PKT3_lS1_PS2_PKS1_21rocsparse_index_base_ ; -- Begin function _ZN9rocsparseL23sddmm_ell_sample_kernelILi16ELi64EfifEEvT2_S1_PKT3_lS1_PS2_PKS1_21rocsparse_index_base_
	.p2align	8
	.type	_ZN9rocsparseL23sddmm_ell_sample_kernelILi16ELi64EfifEEvT2_S1_PKT3_lS1_PS2_PKS1_21rocsparse_index_base_,@function
_ZN9rocsparseL23sddmm_ell_sample_kernelILi16ELi64EfifEEvT2_S1_PKT3_lS1_PS2_PKS1_21rocsparse_index_base_: ; @_ZN9rocsparseL23sddmm_ell_sample_kernelILi16ELi64EfifEEvT2_S1_PKT3_lS1_PS2_PKS1_21rocsparse_index_base_
; %bb.0:
	s_load_b32 s2, s[0:1], 0x18
	v_lshrrev_b32_e32 v1, 6, v0
	s_delay_alu instid0(VALU_DEP_1) | instskip(SKIP_1) | instid1(VALU_DEP_1)
	v_lshl_or_b32 v1, s15, 4, v1
	s_waitcnt lgkmcnt(0)
	v_cmp_gt_u32_e32 vcc_lo, s2, v1
	s_and_saveexec_b32 s2, vcc_lo
	s_cbranch_execz .LBB7_6
; %bb.1:
	s_load_b64 s[2:3], s[0:1], 0x0
	v_and_b32_e32 v6, 63, v0
	s_waitcnt lgkmcnt(0)
	s_delay_alu instid0(VALU_DEP_1)
	v_cmp_gt_i32_e32 vcc_lo, s2, v6
	s_and_b32 exec_lo, exec_lo, vcc_lo
	s_cbranch_execz .LBB7_6
; %bb.2:
	s_clause 0x2
	s_load_b128 s[8:11], s[0:1], 0x8
	s_load_b128 s[4:7], s[0:1], 0x20
	s_load_b32 s1, s[0:1], 0x30
	v_and_b32_e32 v0, 63, v0
	v_mul_lo_u32 v7, v1, s2
	s_delay_alu instid0(VALU_DEP_2) | instskip(SKIP_1) | instid1(VALU_DEP_1)
	v_dual_mov_b32 v1, 0 :: v_dual_lshlrev_b32 v0, 2, v0
	s_waitcnt lgkmcnt(0)
	v_add_co_u32 v2, s0, s8, v0
	s_delay_alu instid0(VALU_DEP_1)
	v_add_co_ci_u32_e64 v3, null, s9, 0, s0
	s_lshl_b64 s[8:9], s[10:11], 2
	s_mov_b32 s10, 0
	s_set_inst_prefetch_distance 0x1
	s_branch .LBB7_4
	.p2align	6
.LBB7_3:                                ;   in Loop: Header=BB7_4 Depth=1
	s_or_b32 exec_lo, exec_lo, s0
	v_add_nc_u32_e32 v6, 64, v6
	v_add_co_u32 v2, s0, 0x100, v2
	s_delay_alu instid0(VALU_DEP_1) | instskip(NEXT) | instid1(VALU_DEP_3)
	v_add_co_ci_u32_e64 v3, s0, 0, v3, s0
	v_cmp_le_i32_e32 vcc_lo, s2, v6
	s_or_b32 s10, vcc_lo, s10
	s_delay_alu instid0(SALU_CYCLE_1)
	s_and_not1_b32 exec_lo, exec_lo, s10
	s_cbranch_execz .LBB7_6
.LBB7_4:                                ; =>This Inner Loop Header: Depth=1
	v_add_nc_u32_e32 v0, v7, v6
	s_delay_alu instid0(VALU_DEP_1) | instskip(NEXT) | instid1(VALU_DEP_1)
	v_lshlrev_b64 v[4:5], 2, v[0:1]
	v_add_co_u32 v8, vcc_lo, s6, v4
	s_delay_alu instid0(VALU_DEP_2) | instskip(SKIP_3) | instid1(VALU_DEP_1)
	v_add_co_ci_u32_e32 v9, vcc_lo, s7, v5, vcc_lo
	global_load_b32 v0, v[8:9], off
	s_waitcnt vmcnt(0)
	v_subrev_nc_u32_e32 v0, s1, v0
	v_cmp_lt_i32_e32 vcc_lo, -1, v0
	v_cmp_gt_i32_e64 s0, s3, v0
	s_delay_alu instid0(VALU_DEP_1) | instskip(NEXT) | instid1(SALU_CYCLE_1)
	s_and_b32 s11, vcc_lo, s0
	s_and_saveexec_b32 s0, s11
	s_cbranch_execz .LBB7_3
; %bb.5:                                ;   in Loop: Header=BB7_4 Depth=1
	v_mad_u64_u32 v[8:9], null, s8, v0, v[2:3]
	v_add_co_u32 v4, vcc_lo, s4, v4
	v_add_co_ci_u32_e32 v5, vcc_lo, s5, v5, vcc_lo
	s_delay_alu instid0(VALU_DEP_3) | instskip(NEXT) | instid1(VALU_DEP_1)
	v_mad_u64_u32 v[10:11], null, s9, v0, v[9:10]
	v_mov_b32_e32 v9, v10
	global_load_b32 v0, v[8:9], off
	s_waitcnt vmcnt(0)
	global_store_b32 v[4:5], v0, off
	s_branch .LBB7_3
.LBB7_6:
	s_set_inst_prefetch_distance 0x2
	s_nop 0
	s_sendmsg sendmsg(MSG_DEALLOC_VGPRS)
	s_endpgm
	.section	.rodata,"a",@progbits
	.p2align	6, 0x0
	.amdhsa_kernel _ZN9rocsparseL23sddmm_ell_sample_kernelILi16ELi64EfifEEvT2_S1_PKT3_lS1_PS2_PKS1_21rocsparse_index_base_
		.amdhsa_group_segment_fixed_size 0
		.amdhsa_private_segment_fixed_size 0
		.amdhsa_kernarg_size 52
		.amdhsa_user_sgpr_count 15
		.amdhsa_user_sgpr_dispatch_ptr 0
		.amdhsa_user_sgpr_queue_ptr 0
		.amdhsa_user_sgpr_kernarg_segment_ptr 1
		.amdhsa_user_sgpr_dispatch_id 0
		.amdhsa_user_sgpr_private_segment_size 0
		.amdhsa_wavefront_size32 1
		.amdhsa_uses_dynamic_stack 0
		.amdhsa_enable_private_segment 0
		.amdhsa_system_sgpr_workgroup_id_x 1
		.amdhsa_system_sgpr_workgroup_id_y 0
		.amdhsa_system_sgpr_workgroup_id_z 0
		.amdhsa_system_sgpr_workgroup_info 0
		.amdhsa_system_vgpr_workitem_id 0
		.amdhsa_next_free_vgpr 12
		.amdhsa_next_free_sgpr 16
		.amdhsa_reserve_vcc 1
		.amdhsa_float_round_mode_32 0
		.amdhsa_float_round_mode_16_64 0
		.amdhsa_float_denorm_mode_32 3
		.amdhsa_float_denorm_mode_16_64 3
		.amdhsa_dx10_clamp 1
		.amdhsa_ieee_mode 1
		.amdhsa_fp16_overflow 0
		.amdhsa_workgroup_processor_mode 1
		.amdhsa_memory_ordered 1
		.amdhsa_forward_progress 0
		.amdhsa_shared_vgpr_count 0
		.amdhsa_exception_fp_ieee_invalid_op 0
		.amdhsa_exception_fp_denorm_src 0
		.amdhsa_exception_fp_ieee_div_zero 0
		.amdhsa_exception_fp_ieee_overflow 0
		.amdhsa_exception_fp_ieee_underflow 0
		.amdhsa_exception_fp_ieee_inexact 0
		.amdhsa_exception_int_div_zero 0
	.end_amdhsa_kernel
	.section	.text._ZN9rocsparseL23sddmm_ell_sample_kernelILi16ELi64EfifEEvT2_S1_PKT3_lS1_PS2_PKS1_21rocsparse_index_base_,"axG",@progbits,_ZN9rocsparseL23sddmm_ell_sample_kernelILi16ELi64EfifEEvT2_S1_PKT3_lS1_PS2_PKS1_21rocsparse_index_base_,comdat
.Lfunc_end7:
	.size	_ZN9rocsparseL23sddmm_ell_sample_kernelILi16ELi64EfifEEvT2_S1_PKT3_lS1_PS2_PKS1_21rocsparse_index_base_, .Lfunc_end7-_ZN9rocsparseL23sddmm_ell_sample_kernelILi16ELi64EfifEEvT2_S1_PKT3_lS1_PS2_PKS1_21rocsparse_index_base_
                                        ; -- End function
	.section	.AMDGPU.csdata,"",@progbits
; Kernel info:
; codeLenInByte = 368
; NumSgprs: 18
; NumVgprs: 12
; ScratchSize: 0
; MemoryBound: 0
; FloatMode: 240
; IeeeMode: 1
; LDSByteSize: 0 bytes/workgroup (compile time only)
; SGPRBlocks: 2
; VGPRBlocks: 1
; NumSGPRsForWavesPerEU: 18
; NumVGPRsForWavesPerEU: 12
; Occupancy: 16
; WaveLimiterHint : 1
; COMPUTE_PGM_RSRC2:SCRATCH_EN: 0
; COMPUTE_PGM_RSRC2:USER_SGPR: 15
; COMPUTE_PGM_RSRC2:TRAP_HANDLER: 0
; COMPUTE_PGM_RSRC2:TGID_X_EN: 1
; COMPUTE_PGM_RSRC2:TGID_Y_EN: 0
; COMPUTE_PGM_RSRC2:TGID_Z_EN: 0
; COMPUTE_PGM_RSRC2:TIDIG_COMP_CNT: 0
	.section	.text._ZN9rocsparseL16sddmm_ell_kernelILi512ELi8EfiifffEEv20rocsparse_operation_S1_16rocsparse_order_S2_T3_S3_S3_T2_NS_24const_host_device_scalarIT1_EEPKT4_lPKT5_lS7_PT6_PKS3_21rocsparse_index_base_b,"axG",@progbits,_ZN9rocsparseL16sddmm_ell_kernelILi512ELi8EfiifffEEv20rocsparse_operation_S1_16rocsparse_order_S2_T3_S3_S3_T2_NS_24const_host_device_scalarIT1_EEPKT4_lPKT5_lS7_PT6_PKS3_21rocsparse_index_base_b,comdat
	.globl	_ZN9rocsparseL16sddmm_ell_kernelILi512ELi8EfiifffEEv20rocsparse_operation_S1_16rocsparse_order_S2_T3_S3_S3_T2_NS_24const_host_device_scalarIT1_EEPKT4_lPKT5_lS7_PT6_PKS3_21rocsparse_index_base_b ; -- Begin function _ZN9rocsparseL16sddmm_ell_kernelILi512ELi8EfiifffEEv20rocsparse_operation_S1_16rocsparse_order_S2_T3_S3_S3_T2_NS_24const_host_device_scalarIT1_EEPKT4_lPKT5_lS7_PT6_PKS3_21rocsparse_index_base_b
	.p2align	8
	.type	_ZN9rocsparseL16sddmm_ell_kernelILi512ELi8EfiifffEEv20rocsparse_operation_S1_16rocsparse_order_S2_T3_S3_S3_T2_NS_24const_host_device_scalarIT1_EEPKT4_lPKT5_lS7_PT6_PKS3_21rocsparse_index_base_b,@function
_ZN9rocsparseL16sddmm_ell_kernelILi512ELi8EfiifffEEv20rocsparse_operation_S1_16rocsparse_order_S2_T3_S3_S3_T2_NS_24const_host_device_scalarIT1_EEPKT4_lPKT5_lS7_PT6_PKS3_21rocsparse_index_base_b: ; @_ZN9rocsparseL16sddmm_ell_kernelILi512ELi8EfiifffEEv20rocsparse_operation_S1_16rocsparse_order_S2_T3_S3_S3_T2_NS_24const_host_device_scalarIT1_EEPKT4_lPKT5_lS7_PT6_PKS3_21rocsparse_index_base_b
; %bb.0:
	s_clause 0x2
	s_load_b64 s[8:9], s[0:1], 0x60
	s_load_b64 s[2:3], s[0:1], 0x20
	s_load_b128 s[4:7], s[0:1], 0x40
	s_waitcnt lgkmcnt(0)
	s_bitcmp1_b32 s9, 0
	s_cselect_b32 s9, -1, 0
	s_delay_alu instid0(SALU_CYCLE_1)
	s_and_b32 vcc_lo, exec_lo, s9
	s_xor_b32 s9, s9, -1
	s_cbranch_vccnz .LBB8_2
; %bb.1:
	s_load_b32 s2, s[2:3], 0x0
.LBB8_2:
	s_and_not1_b32 vcc_lo, exec_lo, s9
	s_cbranch_vccnz .LBB8_4
; %bb.3:
	s_load_b32 s6, s[6:7], 0x0
.LBB8_4:
	s_waitcnt lgkmcnt(0)
	v_cmp_eq_f32_e64 s3, s2, 0
	v_cmp_eq_f32_e64 s7, s6, 1.0
	s_delay_alu instid0(VALU_DEP_1) | instskip(NEXT) | instid1(SALU_CYCLE_1)
	s_and_b32 s3, s3, s7
	s_and_b32 vcc_lo, exec_lo, s3
	s_cbranch_vccnz .LBB8_35
; %bb.5:
	s_load_b64 s[12:13], s[0:1], 0x18
	v_lshrrev_b32_e32 v9, 3, v0
	s_mov_b32 s3, exec_lo
	s_delay_alu instid0(VALU_DEP_1) | instskip(SKIP_1) | instid1(VALU_DEP_1)
	v_lshl_or_b32 v4, s15, 6, v9
	s_waitcnt lgkmcnt(0)
	v_cmpx_gt_i32_e64 s13, v4
	s_cbranch_execz .LBB8_35
; %bb.6:
	s_load_b64 s[10:11], s[0:1], 0x58
	v_ashrrev_i32_e32 v5, 31, v4
	s_mov_b32 s13, -1
	s_delay_alu instid0(VALU_DEP_1) | instskip(SKIP_1) | instid1(VALU_DEP_1)
	v_lshlrev_b64 v[1:2], 2, v[4:5]
	s_waitcnt lgkmcnt(0)
	v_add_co_u32 v6, vcc_lo, s10, v1
	s_delay_alu instid0(VALU_DEP_2) | instskip(SKIP_3) | instid1(VALU_DEP_1)
	v_add_co_ci_u32_e32 v7, vcc_lo, s11, v2, vcc_lo
	global_load_b32 v3, v[6:7], off
	s_waitcnt vmcnt(0)
	v_subrev_nc_u32_e32 v3, s8, v3
	v_cmp_lt_i32_e32 vcc_lo, -1, v3
	s_and_b32 exec_lo, exec_lo, vcc_lo
	s_cbranch_execz .LBB8_35
; %bb.7:
	s_clause 0x1
	s_load_b128 s[8:11], s[0:1], 0x0
	s_load_b32 s14, s[0:1], 0x10
	v_sub_nc_u32_e32 v8, 0, v4
	s_delay_alu instid0(VALU_DEP_1)
	v_max_i32_e32 v4, v4, v8
	s_waitcnt lgkmcnt(0)
	s_cmp_eq_u32 s10, 1
	s_cselect_b32 s3, -1, 0
	s_cmpk_eq_i32 s8, 0x6f
	s_cselect_b32 s7, -1, 0
	s_cmpk_lg_i32 s8, 0x6f
	s_cselect_b32 s8, -1, 0
	s_abs_i32 s16, s14
	s_delay_alu instid0(SALU_CYCLE_1) | instskip(SKIP_2) | instid1(VALU_DEP_1)
	v_cvt_f32_u32_e32 v6, s16
	s_sub_i32 s14, 0, s16
	s_cmp_lg_u32 s10, 1
	v_rcp_iflag_f32_e32 v6, v6
	s_waitcnt_depctr 0xfff
	v_mul_f32_e32 v6, 0x4f7ffffe, v6
	s_delay_alu instid0(VALU_DEP_1) | instskip(NEXT) | instid1(VALU_DEP_1)
	v_cvt_u32_f32_e32 v6, v6
	v_mul_lo_u32 v7, s14, v6
	s_load_b64 s[14:15], s[0:1], 0x30
	s_delay_alu instid0(VALU_DEP_1) | instskip(NEXT) | instid1(VALU_DEP_1)
	v_mul_hi_u32 v7, v6, v7
	v_add_nc_u32_e32 v6, v6, v7
	s_delay_alu instid0(VALU_DEP_1) | instskip(NEXT) | instid1(VALU_DEP_1)
	v_mul_hi_u32 v6, v4, v6
	v_mul_lo_u32 v6, v6, s16
	s_delay_alu instid0(VALU_DEP_1) | instskip(NEXT) | instid1(VALU_DEP_1)
	v_sub_nc_u32_e32 v4, v4, v6
	v_subrev_nc_u32_e32 v6, s16, v4
	v_cmp_le_u32_e32 vcc_lo, s16, v4
	s_delay_alu instid0(VALU_DEP_2) | instskip(NEXT) | instid1(VALU_DEP_1)
	v_cndmask_b32_e32 v4, v4, v6, vcc_lo
	v_subrev_nc_u32_e32 v6, s16, v4
	v_cmp_le_u32_e32 vcc_lo, s16, v4
	s_delay_alu instid0(VALU_DEP_2) | instskip(NEXT) | instid1(VALU_DEP_1)
	v_cndmask_b32_e32 v4, v4, v6, vcc_lo
	v_xor_b32_e32 v4, v4, v5
	s_delay_alu instid0(VALU_DEP_1) | instskip(NEXT) | instid1(VALU_DEP_1)
	v_sub_nc_u32_e32 v7, v4, v5
	v_ashrrev_i32_e32 v8, 31, v7
	s_cbranch_scc0 .LBB8_11
; %bb.8:
	s_delay_alu instid0(VALU_DEP_1)
	v_dual_mov_b32 v5, v7 :: v_dual_mov_b32 v6, v8
	s_and_not1_b32 vcc_lo, exec_lo, s7
	s_cbranch_vccnz .LBB8_10
; %bb.9:
	s_waitcnt lgkmcnt(0)
	v_mul_lo_u32 v4, v8, s14
	v_mul_lo_u32 v10, v7, s15
	v_mad_u64_u32 v[5:6], null, v7, s14, 0
	s_delay_alu instid0(VALU_DEP_1)
	v_add3_u32 v6, v6, v10, v4
.LBB8_10:
	s_cbranch_execz .LBB8_12
	s_branch .LBB8_15
.LBB8_11:
                                        ; implicit-def: $vgpr5_vgpr6
	s_and_not1_b32 vcc_lo, exec_lo, s13
	s_cbranch_vccnz .LBB8_15
.LBB8_12:
	s_and_not1_b32 vcc_lo, exec_lo, s8
	s_cbranch_vccnz .LBB8_14
; %bb.13:
	s_waitcnt lgkmcnt(0)
	v_mul_lo_u32 v6, v8, s14
	v_mul_lo_u32 v8, v7, s15
	v_mad_u64_u32 v[4:5], null, v7, s14, 0
	s_delay_alu instid0(VALU_DEP_1) | instskip(NEXT) | instid1(VALU_DEP_1)
	v_add3_u32 v5, v5, v8, v6
	v_dual_mov_b32 v8, v5 :: v_dual_mov_b32 v7, v4
.LBB8_14:
	s_delay_alu instid0(VALU_DEP_1)
	v_dual_mov_b32 v5, v7 :: v_dual_mov_b32 v6, v8
.LBB8_15:
	s_cmp_eq_u32 s11, 1
	v_mov_b32_e32 v4, 0
	s_cselect_b32 s10, -1, 0
	s_cmpk_eq_i32 s9, 0x6f
	s_cselect_b32 s16, -1, 0
	s_cmpk_lg_i32 s9, 0x6f
	s_cselect_b32 s8, -1, 0
	s_cmp_lg_u32 s11, 1
	s_cbranch_scc0 .LBB8_19
; %bb.16:
	v_dual_mov_b32 v8, v4 :: v_dual_mov_b32 v7, v3
	s_and_not1_b32 vcc_lo, exec_lo, s8
	s_cbranch_vccnz .LBB8_18
; %bb.17:
	v_mad_u64_u32 v[7:8], null, v3, s4, 0
	s_delay_alu instid0(VALU_DEP_1) | instskip(NEXT) | instid1(VALU_DEP_1)
	v_mad_u64_u32 v[10:11], null, v3, s5, v[8:9]
	v_mov_b32_e32 v8, v10
.LBB8_18:
	s_cbranch_execz .LBB8_20
	s_branch .LBB8_23
.LBB8_19:
                                        ; implicit-def: $vgpr7_vgpr8
.LBB8_20:
	s_and_not1_b32 vcc_lo, exec_lo, s16
	s_cbranch_vccnz .LBB8_22
; %bb.21:
	v_mad_u64_u32 v[7:8], null, v3, s4, 0
	s_delay_alu instid0(VALU_DEP_1) | instskip(NEXT) | instid1(VALU_DEP_1)
	v_mov_b32_e32 v4, v8
	v_mad_u64_u32 v[10:11], null, v3, s5, v[4:5]
	s_delay_alu instid0(VALU_DEP_1) | instskip(NEXT) | instid1(VALU_DEP_1)
	v_mov_b32_e32 v8, v10
	v_dual_mov_b32 v3, v7 :: v_dual_mov_b32 v4, v8
.LBB8_22:
	s_delay_alu instid0(VALU_DEP_1)
	v_dual_mov_b32 v8, v4 :: v_dual_mov_b32 v7, v3
.LBB8_23:
	s_load_b64 s[8:9], s[0:1], 0x50
	v_dual_mov_b32 v11, 0 :: v_dual_and_b32 v10, 7, v0
	s_mov_b32 s13, exec_lo
	s_delay_alu instid0(VALU_DEP_1)
	v_cmpx_gt_i32_e64 s12, v10
	s_cbranch_execz .LBB8_27
; %bb.24:
	s_xor_b32 s3, s7, s3
	v_and_b32_e32 v11, 7, v0
	s_and_b32 s3, s3, exec_lo
	s_waitcnt lgkmcnt(0)
	s_cselect_b32 s14, 1, s14
	s_cselect_b32 s15, 0, s15
	s_xor_b32 s3, s16, s10
	v_mad_u64_u32 v[3:4], null, s14, v11, 0
	s_and_b32 s3, s3, exec_lo
	s_cselect_b32 s10, s4, 1
	s_cselect_b32 s11, s5, 0
	s_clause 0x1
	s_load_b64 s[4:5], s[0:1], 0x28
	s_load_b64 s[0:1], s[0:1], 0x38
	v_lshlrev_b64 v[7:8], 2, v[7:8]
	v_mov_b32_e32 v0, v4
	v_mad_u64_u32 v[12:13], null, s10, v11, 0
	s_delay_alu instid0(VALU_DEP_1) | instskip(NEXT) | instid1(VALU_DEP_3)
	v_mov_b32_e32 v4, v13
	v_mad_u64_u32 v[13:14], null, s15, v11, v[0:1]
	s_delay_alu instid0(VALU_DEP_2) | instskip(SKIP_1) | instid1(VALU_DEP_3)
	v_mad_u64_u32 v[14:15], null, s11, v11, v[4:5]
	v_lshlrev_b64 v[5:6], 2, v[5:6]
	v_dual_mov_b32 v11, 0 :: v_dual_mov_b32 v4, v13
	s_lshl_b64 s[10:11], s[10:11], 5
	s_delay_alu instid0(VALU_DEP_3) | instskip(NEXT) | instid1(VALU_DEP_2)
	v_mov_b32_e32 v13, v14
	v_lshlrev_b64 v[3:4], 2, v[3:4]
	s_delay_alu instid0(VALU_DEP_2) | instskip(NEXT) | instid1(VALU_DEP_2)
	v_lshlrev_b64 v[12:13], 2, v[12:13]
	v_add_co_u32 v0, vcc_lo, v3, v5
	s_delay_alu instid0(VALU_DEP_3) | instskip(NEXT) | instid1(VALU_DEP_3)
	v_add_co_ci_u32_e32 v4, vcc_lo, v4, v6, vcc_lo
	v_add_co_u32 v5, vcc_lo, v12, v7
	s_delay_alu instid0(VALU_DEP_4)
	v_add_co_ci_u32_e32 v6, vcc_lo, v13, v8, vcc_lo
	s_waitcnt lgkmcnt(0)
	v_add_co_u32 v3, vcc_lo, s4, v0
	v_add_co_ci_u32_e32 v4, vcc_lo, s5, v4, vcc_lo
	v_add_co_u32 v5, vcc_lo, s0, v5
	v_add_co_ci_u32_e32 v6, vcc_lo, s1, v6, vcc_lo
	v_mov_b32_e32 v0, v10
	s_mov_b32 s1, 0
	s_lshl_b64 s[4:5], s[14:15], 5
	.p2align	6
.LBB8_25:                               ; =>This Inner Loop Header: Depth=1
	global_load_b32 v7, v[3:4], off
	global_load_b32 v8, v[5:6], off
	v_add_nc_u32_e32 v0, 8, v0
	v_add_co_u32 v3, vcc_lo, v3, s4
	v_add_co_ci_u32_e32 v4, vcc_lo, s5, v4, vcc_lo
	v_add_co_u32 v5, vcc_lo, v5, s10
	s_delay_alu instid0(VALU_DEP_4) | instskip(SKIP_1) | instid1(VALU_DEP_2)
	v_cmp_le_i32_e64 s0, s12, v0
	v_add_co_ci_u32_e32 v6, vcc_lo, s11, v6, vcc_lo
	s_or_b32 s1, s0, s1
	s_waitcnt vmcnt(0)
	v_fmac_f32_e32 v11, v7, v8
	s_and_not1_b32 exec_lo, exec_lo, s1
	s_cbranch_execnz .LBB8_25
; %bb.26:
	s_or_b32 exec_lo, exec_lo, s1
.LBB8_27:
	s_delay_alu instid0(SALU_CYCLE_1) | instskip(SKIP_2) | instid1(VALU_DEP_1)
	s_or_b32 exec_lo, exec_lo, s13
	v_lshlrev_b32_e32 v0, 2, v10
	s_mov_b32 s0, exec_lo
	v_lshl_or_b32 v0, v9, 5, v0
	ds_store_b32 v0, v11
	s_waitcnt lgkmcnt(0)
	s_barrier
	buffer_gl0_inv
	v_cmpx_gt_u32_e32 4, v10
	s_cbranch_execz .LBB8_29
; %bb.28:
	ds_load_2addr_b32 v[3:4], v0 offset1:4
	s_waitcnt lgkmcnt(0)
	v_add_f32_e32 v3, v4, v3
	ds_store_b32 v0, v3
.LBB8_29:
	s_or_b32 exec_lo, exec_lo, s0
	s_delay_alu instid0(SALU_CYCLE_1)
	s_mov_b32 s0, exec_lo
	s_waitcnt lgkmcnt(0)
	s_barrier
	buffer_gl0_inv
	v_cmpx_gt_u32_e32 2, v10
	s_cbranch_execz .LBB8_31
; %bb.30:
	ds_load_2addr_b32 v[3:4], v0 offset1:2
	s_waitcnt lgkmcnt(0)
	v_add_f32_e32 v3, v4, v3
	ds_store_b32 v0, v3
.LBB8_31:
	s_or_b32 exec_lo, exec_lo, s0
	v_cmp_eq_u32_e32 vcc_lo, 0, v10
	v_lshlrev_b32_e32 v3, 5, v9
	s_waitcnt lgkmcnt(0)
	s_barrier
	buffer_gl0_inv
	s_and_saveexec_b32 s0, vcc_lo
	s_cbranch_execz .LBB8_33
; %bb.32:
	ds_load_b32 v4, v3 offset:4
	ds_load_b32 v5, v0
	s_waitcnt lgkmcnt(0)
	v_add_f32_e32 v4, v4, v5
	ds_store_b32 v0, v4
.LBB8_33:
	s_or_b32 exec_lo, exec_lo, s0
	s_waitcnt lgkmcnt(0)
	s_barrier
	buffer_gl0_inv
	s_and_b32 exec_lo, exec_lo, vcc_lo
	s_cbranch_execz .LBB8_35
; %bb.34:
	v_add_co_u32 v0, vcc_lo, s8, v1
	v_add_co_ci_u32_e32 v1, vcc_lo, s9, v2, vcc_lo
	ds_load_b32 v3, v3
	global_load_b32 v2, v[0:1], off
	s_waitcnt lgkmcnt(0)
	v_mul_f32_e32 v3, s2, v3
	s_waitcnt vmcnt(0)
	s_delay_alu instid0(VALU_DEP_1)
	v_fmac_f32_e32 v3, s6, v2
	global_store_b32 v[0:1], v3, off
.LBB8_35:
	s_nop 0
	s_sendmsg sendmsg(MSG_DEALLOC_VGPRS)
	s_endpgm
	.section	.rodata,"a",@progbits
	.p2align	6, 0x0
	.amdhsa_kernel _ZN9rocsparseL16sddmm_ell_kernelILi512ELi8EfiifffEEv20rocsparse_operation_S1_16rocsparse_order_S2_T3_S3_S3_T2_NS_24const_host_device_scalarIT1_EEPKT4_lPKT5_lS7_PT6_PKS3_21rocsparse_index_base_b
		.amdhsa_group_segment_fixed_size 2048
		.amdhsa_private_segment_fixed_size 0
		.amdhsa_kernarg_size 104
		.amdhsa_user_sgpr_count 15
		.amdhsa_user_sgpr_dispatch_ptr 0
		.amdhsa_user_sgpr_queue_ptr 0
		.amdhsa_user_sgpr_kernarg_segment_ptr 1
		.amdhsa_user_sgpr_dispatch_id 0
		.amdhsa_user_sgpr_private_segment_size 0
		.amdhsa_wavefront_size32 1
		.amdhsa_uses_dynamic_stack 0
		.amdhsa_enable_private_segment 0
		.amdhsa_system_sgpr_workgroup_id_x 1
		.amdhsa_system_sgpr_workgroup_id_y 0
		.amdhsa_system_sgpr_workgroup_id_z 0
		.amdhsa_system_sgpr_workgroup_info 0
		.amdhsa_system_vgpr_workitem_id 0
		.amdhsa_next_free_vgpr 16
		.amdhsa_next_free_sgpr 17
		.amdhsa_reserve_vcc 1
		.amdhsa_float_round_mode_32 0
		.amdhsa_float_round_mode_16_64 0
		.amdhsa_float_denorm_mode_32 3
		.amdhsa_float_denorm_mode_16_64 3
		.amdhsa_dx10_clamp 1
		.amdhsa_ieee_mode 1
		.amdhsa_fp16_overflow 0
		.amdhsa_workgroup_processor_mode 1
		.amdhsa_memory_ordered 1
		.amdhsa_forward_progress 0
		.amdhsa_shared_vgpr_count 0
		.amdhsa_exception_fp_ieee_invalid_op 0
		.amdhsa_exception_fp_denorm_src 0
		.amdhsa_exception_fp_ieee_div_zero 0
		.amdhsa_exception_fp_ieee_overflow 0
		.amdhsa_exception_fp_ieee_underflow 0
		.amdhsa_exception_fp_ieee_inexact 0
		.amdhsa_exception_int_div_zero 0
	.end_amdhsa_kernel
	.section	.text._ZN9rocsparseL16sddmm_ell_kernelILi512ELi8EfiifffEEv20rocsparse_operation_S1_16rocsparse_order_S2_T3_S3_S3_T2_NS_24const_host_device_scalarIT1_EEPKT4_lPKT5_lS7_PT6_PKS3_21rocsparse_index_base_b,"axG",@progbits,_ZN9rocsparseL16sddmm_ell_kernelILi512ELi8EfiifffEEv20rocsparse_operation_S1_16rocsparse_order_S2_T3_S3_S3_T2_NS_24const_host_device_scalarIT1_EEPKT4_lPKT5_lS7_PT6_PKS3_21rocsparse_index_base_b,comdat
.Lfunc_end8:
	.size	_ZN9rocsparseL16sddmm_ell_kernelILi512ELi8EfiifffEEv20rocsparse_operation_S1_16rocsparse_order_S2_T3_S3_S3_T2_NS_24const_host_device_scalarIT1_EEPKT4_lPKT5_lS7_PT6_PKS3_21rocsparse_index_base_b, .Lfunc_end8-_ZN9rocsparseL16sddmm_ell_kernelILi512ELi8EfiifffEEv20rocsparse_operation_S1_16rocsparse_order_S2_T3_S3_S3_T2_NS_24const_host_device_scalarIT1_EEPKT4_lPKT5_lS7_PT6_PKS3_21rocsparse_index_base_b
                                        ; -- End function
	.section	.AMDGPU.csdata,"",@progbits
; Kernel info:
; codeLenInByte = 1396
; NumSgprs: 19
; NumVgprs: 16
; ScratchSize: 0
; MemoryBound: 0
; FloatMode: 240
; IeeeMode: 1
; LDSByteSize: 2048 bytes/workgroup (compile time only)
; SGPRBlocks: 2
; VGPRBlocks: 1
; NumSGPRsForWavesPerEU: 19
; NumVGPRsForWavesPerEU: 16
; Occupancy: 16
; WaveLimiterHint : 0
; COMPUTE_PGM_RSRC2:SCRATCH_EN: 0
; COMPUTE_PGM_RSRC2:USER_SGPR: 15
; COMPUTE_PGM_RSRC2:TRAP_HANDLER: 0
; COMPUTE_PGM_RSRC2:TGID_X_EN: 1
; COMPUTE_PGM_RSRC2:TGID_Y_EN: 0
; COMPUTE_PGM_RSRC2:TGID_Z_EN: 0
; COMPUTE_PGM_RSRC2:TIDIG_COMP_CNT: 0
	.section	.text._ZN9rocsparseL16sddmm_ell_kernelILi512ELi4EfiifffEEv20rocsparse_operation_S1_16rocsparse_order_S2_T3_S3_S3_T2_NS_24const_host_device_scalarIT1_EEPKT4_lPKT5_lS7_PT6_PKS3_21rocsparse_index_base_b,"axG",@progbits,_ZN9rocsparseL16sddmm_ell_kernelILi512ELi4EfiifffEEv20rocsparse_operation_S1_16rocsparse_order_S2_T3_S3_S3_T2_NS_24const_host_device_scalarIT1_EEPKT4_lPKT5_lS7_PT6_PKS3_21rocsparse_index_base_b,comdat
	.globl	_ZN9rocsparseL16sddmm_ell_kernelILi512ELi4EfiifffEEv20rocsparse_operation_S1_16rocsparse_order_S2_T3_S3_S3_T2_NS_24const_host_device_scalarIT1_EEPKT4_lPKT5_lS7_PT6_PKS3_21rocsparse_index_base_b ; -- Begin function _ZN9rocsparseL16sddmm_ell_kernelILi512ELi4EfiifffEEv20rocsparse_operation_S1_16rocsparse_order_S2_T3_S3_S3_T2_NS_24const_host_device_scalarIT1_EEPKT4_lPKT5_lS7_PT6_PKS3_21rocsparse_index_base_b
	.p2align	8
	.type	_ZN9rocsparseL16sddmm_ell_kernelILi512ELi4EfiifffEEv20rocsparse_operation_S1_16rocsparse_order_S2_T3_S3_S3_T2_NS_24const_host_device_scalarIT1_EEPKT4_lPKT5_lS7_PT6_PKS3_21rocsparse_index_base_b,@function
_ZN9rocsparseL16sddmm_ell_kernelILi512ELi4EfiifffEEv20rocsparse_operation_S1_16rocsparse_order_S2_T3_S3_S3_T2_NS_24const_host_device_scalarIT1_EEPKT4_lPKT5_lS7_PT6_PKS3_21rocsparse_index_base_b: ; @_ZN9rocsparseL16sddmm_ell_kernelILi512ELi4EfiifffEEv20rocsparse_operation_S1_16rocsparse_order_S2_T3_S3_S3_T2_NS_24const_host_device_scalarIT1_EEPKT4_lPKT5_lS7_PT6_PKS3_21rocsparse_index_base_b
; %bb.0:
	s_clause 0x2
	s_load_b64 s[8:9], s[0:1], 0x60
	s_load_b64 s[2:3], s[0:1], 0x20
	s_load_b128 s[4:7], s[0:1], 0x40
	s_waitcnt lgkmcnt(0)
	s_bitcmp1_b32 s9, 0
	s_cselect_b32 s9, -1, 0
	s_delay_alu instid0(SALU_CYCLE_1)
	s_and_b32 vcc_lo, exec_lo, s9
	s_xor_b32 s9, s9, -1
	s_cbranch_vccnz .LBB9_2
; %bb.1:
	s_load_b32 s2, s[2:3], 0x0
.LBB9_2:
	s_and_not1_b32 vcc_lo, exec_lo, s9
	s_cbranch_vccnz .LBB9_4
; %bb.3:
	s_load_b32 s6, s[6:7], 0x0
.LBB9_4:
	s_waitcnt lgkmcnt(0)
	v_cmp_eq_f32_e64 s3, s2, 0
	v_cmp_eq_f32_e64 s7, s6, 1.0
	s_delay_alu instid0(VALU_DEP_1) | instskip(NEXT) | instid1(SALU_CYCLE_1)
	s_and_b32 s3, s3, s7
	s_and_b32 vcc_lo, exec_lo, s3
	s_cbranch_vccnz .LBB9_33
; %bb.5:
	s_load_b64 s[12:13], s[0:1], 0x18
	v_lshrrev_b32_e32 v9, 2, v0
	s_mov_b32 s3, exec_lo
	s_delay_alu instid0(VALU_DEP_1) | instskip(SKIP_1) | instid1(VALU_DEP_1)
	v_lshl_or_b32 v4, s15, 7, v9
	s_waitcnt lgkmcnt(0)
	v_cmpx_gt_i32_e64 s13, v4
	s_cbranch_execz .LBB9_33
; %bb.6:
	s_load_b64 s[10:11], s[0:1], 0x58
	v_ashrrev_i32_e32 v5, 31, v4
	s_mov_b32 s13, -1
	s_delay_alu instid0(VALU_DEP_1) | instskip(SKIP_1) | instid1(VALU_DEP_1)
	v_lshlrev_b64 v[1:2], 2, v[4:5]
	s_waitcnt lgkmcnt(0)
	v_add_co_u32 v6, vcc_lo, s10, v1
	s_delay_alu instid0(VALU_DEP_2) | instskip(SKIP_3) | instid1(VALU_DEP_1)
	v_add_co_ci_u32_e32 v7, vcc_lo, s11, v2, vcc_lo
	global_load_b32 v3, v[6:7], off
	s_waitcnt vmcnt(0)
	v_subrev_nc_u32_e32 v3, s8, v3
	v_cmp_lt_i32_e32 vcc_lo, -1, v3
	s_and_b32 exec_lo, exec_lo, vcc_lo
	s_cbranch_execz .LBB9_33
; %bb.7:
	s_clause 0x1
	s_load_b128 s[8:11], s[0:1], 0x0
	s_load_b32 s14, s[0:1], 0x10
	v_sub_nc_u32_e32 v8, 0, v4
	s_delay_alu instid0(VALU_DEP_1)
	v_max_i32_e32 v4, v4, v8
	s_waitcnt lgkmcnt(0)
	s_cmp_eq_u32 s10, 1
	s_cselect_b32 s3, -1, 0
	s_cmpk_eq_i32 s8, 0x6f
	s_cselect_b32 s7, -1, 0
	s_cmpk_lg_i32 s8, 0x6f
	s_cselect_b32 s8, -1, 0
	s_abs_i32 s16, s14
	s_delay_alu instid0(SALU_CYCLE_1) | instskip(SKIP_2) | instid1(VALU_DEP_1)
	v_cvt_f32_u32_e32 v6, s16
	s_sub_i32 s14, 0, s16
	s_cmp_lg_u32 s10, 1
	v_rcp_iflag_f32_e32 v6, v6
	s_waitcnt_depctr 0xfff
	v_mul_f32_e32 v6, 0x4f7ffffe, v6
	s_delay_alu instid0(VALU_DEP_1) | instskip(NEXT) | instid1(VALU_DEP_1)
	v_cvt_u32_f32_e32 v6, v6
	v_mul_lo_u32 v7, s14, v6
	s_load_b64 s[14:15], s[0:1], 0x30
	s_delay_alu instid0(VALU_DEP_1) | instskip(NEXT) | instid1(VALU_DEP_1)
	v_mul_hi_u32 v7, v6, v7
	v_add_nc_u32_e32 v6, v6, v7
	s_delay_alu instid0(VALU_DEP_1) | instskip(NEXT) | instid1(VALU_DEP_1)
	v_mul_hi_u32 v6, v4, v6
	v_mul_lo_u32 v6, v6, s16
	s_delay_alu instid0(VALU_DEP_1) | instskip(NEXT) | instid1(VALU_DEP_1)
	v_sub_nc_u32_e32 v4, v4, v6
	v_subrev_nc_u32_e32 v6, s16, v4
	v_cmp_le_u32_e32 vcc_lo, s16, v4
	s_delay_alu instid0(VALU_DEP_2) | instskip(NEXT) | instid1(VALU_DEP_1)
	v_cndmask_b32_e32 v4, v4, v6, vcc_lo
	v_subrev_nc_u32_e32 v6, s16, v4
	v_cmp_le_u32_e32 vcc_lo, s16, v4
	s_delay_alu instid0(VALU_DEP_2) | instskip(NEXT) | instid1(VALU_DEP_1)
	v_cndmask_b32_e32 v4, v4, v6, vcc_lo
	v_xor_b32_e32 v4, v4, v5
	s_delay_alu instid0(VALU_DEP_1) | instskip(NEXT) | instid1(VALU_DEP_1)
	v_sub_nc_u32_e32 v7, v4, v5
	v_ashrrev_i32_e32 v8, 31, v7
	s_cbranch_scc0 .LBB9_11
; %bb.8:
	s_delay_alu instid0(VALU_DEP_1)
	v_dual_mov_b32 v5, v7 :: v_dual_mov_b32 v6, v8
	s_and_not1_b32 vcc_lo, exec_lo, s7
	s_cbranch_vccnz .LBB9_10
; %bb.9:
	s_waitcnt lgkmcnt(0)
	v_mul_lo_u32 v4, v8, s14
	v_mul_lo_u32 v10, v7, s15
	v_mad_u64_u32 v[5:6], null, v7, s14, 0
	s_delay_alu instid0(VALU_DEP_1)
	v_add3_u32 v6, v6, v10, v4
.LBB9_10:
	s_cbranch_execz .LBB9_12
	s_branch .LBB9_15
.LBB9_11:
                                        ; implicit-def: $vgpr5_vgpr6
	s_and_not1_b32 vcc_lo, exec_lo, s13
	s_cbranch_vccnz .LBB9_15
.LBB9_12:
	s_and_not1_b32 vcc_lo, exec_lo, s8
	s_cbranch_vccnz .LBB9_14
; %bb.13:
	s_waitcnt lgkmcnt(0)
	v_mul_lo_u32 v6, v8, s14
	v_mul_lo_u32 v8, v7, s15
	v_mad_u64_u32 v[4:5], null, v7, s14, 0
	s_delay_alu instid0(VALU_DEP_1) | instskip(NEXT) | instid1(VALU_DEP_1)
	v_add3_u32 v5, v5, v8, v6
	v_dual_mov_b32 v8, v5 :: v_dual_mov_b32 v7, v4
.LBB9_14:
	s_delay_alu instid0(VALU_DEP_1)
	v_dual_mov_b32 v5, v7 :: v_dual_mov_b32 v6, v8
.LBB9_15:
	s_cmp_eq_u32 s11, 1
	v_mov_b32_e32 v4, 0
	s_cselect_b32 s10, -1, 0
	s_cmpk_eq_i32 s9, 0x6f
	s_cselect_b32 s16, -1, 0
	s_cmpk_lg_i32 s9, 0x6f
	s_cselect_b32 s8, -1, 0
	s_cmp_lg_u32 s11, 1
	s_cbranch_scc0 .LBB9_19
; %bb.16:
	v_dual_mov_b32 v8, v4 :: v_dual_mov_b32 v7, v3
	s_and_not1_b32 vcc_lo, exec_lo, s8
	s_cbranch_vccnz .LBB9_18
; %bb.17:
	v_mad_u64_u32 v[7:8], null, v3, s4, 0
	s_delay_alu instid0(VALU_DEP_1) | instskip(NEXT) | instid1(VALU_DEP_1)
	v_mad_u64_u32 v[10:11], null, v3, s5, v[8:9]
	v_mov_b32_e32 v8, v10
.LBB9_18:
	s_cbranch_execz .LBB9_20
	s_branch .LBB9_23
.LBB9_19:
                                        ; implicit-def: $vgpr7_vgpr8
.LBB9_20:
	s_and_not1_b32 vcc_lo, exec_lo, s16
	s_cbranch_vccnz .LBB9_22
; %bb.21:
	v_mad_u64_u32 v[7:8], null, v3, s4, 0
	s_delay_alu instid0(VALU_DEP_1) | instskip(NEXT) | instid1(VALU_DEP_1)
	v_mov_b32_e32 v4, v8
	v_mad_u64_u32 v[10:11], null, v3, s5, v[4:5]
	s_delay_alu instid0(VALU_DEP_1) | instskip(NEXT) | instid1(VALU_DEP_1)
	v_mov_b32_e32 v8, v10
	v_dual_mov_b32 v3, v7 :: v_dual_mov_b32 v4, v8
.LBB9_22:
	s_delay_alu instid0(VALU_DEP_1)
	v_dual_mov_b32 v8, v4 :: v_dual_mov_b32 v7, v3
.LBB9_23:
	s_load_b64 s[8:9], s[0:1], 0x50
	v_dual_mov_b32 v11, 0 :: v_dual_and_b32 v10, 3, v0
	s_mov_b32 s13, exec_lo
	s_delay_alu instid0(VALU_DEP_1)
	v_cmpx_gt_i32_e64 s12, v10
	s_cbranch_execz .LBB9_27
; %bb.24:
	s_xor_b32 s3, s7, s3
	v_and_b32_e32 v11, 3, v0
	s_and_b32 s3, s3, exec_lo
	s_waitcnt lgkmcnt(0)
	s_cselect_b32 s14, 1, s14
	s_cselect_b32 s15, 0, s15
	s_xor_b32 s3, s16, s10
	v_mad_u64_u32 v[3:4], null, s14, v11, 0
	s_and_b32 s3, s3, exec_lo
	s_cselect_b32 s10, s4, 1
	s_cselect_b32 s11, s5, 0
	s_clause 0x1
	s_load_b64 s[4:5], s[0:1], 0x28
	s_load_b64 s[0:1], s[0:1], 0x38
	v_lshlrev_b64 v[7:8], 2, v[7:8]
	v_mov_b32_e32 v0, v4
	v_mad_u64_u32 v[12:13], null, s10, v11, 0
	s_delay_alu instid0(VALU_DEP_1) | instskip(NEXT) | instid1(VALU_DEP_3)
	v_mov_b32_e32 v4, v13
	v_mad_u64_u32 v[13:14], null, s15, v11, v[0:1]
	s_delay_alu instid0(VALU_DEP_2) | instskip(SKIP_1) | instid1(VALU_DEP_3)
	v_mad_u64_u32 v[14:15], null, s11, v11, v[4:5]
	v_lshlrev_b64 v[5:6], 2, v[5:6]
	v_dual_mov_b32 v11, 0 :: v_dual_mov_b32 v4, v13
	s_lshl_b64 s[10:11], s[10:11], 4
	s_delay_alu instid0(VALU_DEP_3) | instskip(NEXT) | instid1(VALU_DEP_2)
	v_mov_b32_e32 v13, v14
	v_lshlrev_b64 v[3:4], 2, v[3:4]
	s_delay_alu instid0(VALU_DEP_2) | instskip(NEXT) | instid1(VALU_DEP_2)
	v_lshlrev_b64 v[12:13], 2, v[12:13]
	v_add_co_u32 v0, vcc_lo, v3, v5
	s_delay_alu instid0(VALU_DEP_3) | instskip(NEXT) | instid1(VALU_DEP_3)
	v_add_co_ci_u32_e32 v4, vcc_lo, v4, v6, vcc_lo
	v_add_co_u32 v5, vcc_lo, v12, v7
	s_delay_alu instid0(VALU_DEP_4)
	v_add_co_ci_u32_e32 v6, vcc_lo, v13, v8, vcc_lo
	s_waitcnt lgkmcnt(0)
	v_add_co_u32 v3, vcc_lo, s4, v0
	v_add_co_ci_u32_e32 v4, vcc_lo, s5, v4, vcc_lo
	v_add_co_u32 v5, vcc_lo, s0, v5
	v_add_co_ci_u32_e32 v6, vcc_lo, s1, v6, vcc_lo
	v_mov_b32_e32 v0, v10
	s_mov_b32 s1, 0
	s_lshl_b64 s[4:5], s[14:15], 4
	.p2align	6
.LBB9_25:                               ; =>This Inner Loop Header: Depth=1
	global_load_b32 v7, v[3:4], off
	global_load_b32 v8, v[5:6], off
	v_add_nc_u32_e32 v0, 4, v0
	v_add_co_u32 v3, vcc_lo, v3, s4
	v_add_co_ci_u32_e32 v4, vcc_lo, s5, v4, vcc_lo
	v_add_co_u32 v5, vcc_lo, v5, s10
	s_delay_alu instid0(VALU_DEP_4) | instskip(SKIP_1) | instid1(VALU_DEP_2)
	v_cmp_le_i32_e64 s0, s12, v0
	v_add_co_ci_u32_e32 v6, vcc_lo, s11, v6, vcc_lo
	s_or_b32 s1, s0, s1
	s_waitcnt vmcnt(0)
	v_fmac_f32_e32 v11, v7, v8
	s_and_not1_b32 exec_lo, exec_lo, s1
	s_cbranch_execnz .LBB9_25
; %bb.26:
	s_or_b32 exec_lo, exec_lo, s1
.LBB9_27:
	s_delay_alu instid0(SALU_CYCLE_1) | instskip(SKIP_2) | instid1(VALU_DEP_1)
	s_or_b32 exec_lo, exec_lo, s13
	v_lshlrev_b32_e32 v0, 2, v10
	s_mov_b32 s0, exec_lo
	v_lshl_or_b32 v0, v9, 4, v0
	ds_store_b32 v0, v11
	s_waitcnt lgkmcnt(0)
	s_barrier
	buffer_gl0_inv
	v_cmpx_gt_u32_e32 2, v10
	s_cbranch_execz .LBB9_29
; %bb.28:
	ds_load_2addr_b32 v[3:4], v0 offset1:2
	s_waitcnt lgkmcnt(0)
	v_add_f32_e32 v3, v4, v3
	ds_store_b32 v0, v3
.LBB9_29:
	s_or_b32 exec_lo, exec_lo, s0
	v_cmp_eq_u32_e32 vcc_lo, 0, v10
	v_lshlrev_b32_e32 v3, 4, v9
	s_waitcnt lgkmcnt(0)
	s_barrier
	buffer_gl0_inv
	s_and_saveexec_b32 s0, vcc_lo
	s_cbranch_execz .LBB9_31
; %bb.30:
	ds_load_b32 v4, v3 offset:4
	ds_load_b32 v5, v0
	s_waitcnt lgkmcnt(0)
	v_add_f32_e32 v4, v4, v5
	ds_store_b32 v0, v4
.LBB9_31:
	s_or_b32 exec_lo, exec_lo, s0
	s_waitcnt lgkmcnt(0)
	s_barrier
	buffer_gl0_inv
	s_and_b32 exec_lo, exec_lo, vcc_lo
	s_cbranch_execz .LBB9_33
; %bb.32:
	v_add_co_u32 v0, vcc_lo, s8, v1
	v_add_co_ci_u32_e32 v1, vcc_lo, s9, v2, vcc_lo
	ds_load_b32 v3, v3
	global_load_b32 v2, v[0:1], off
	s_waitcnt lgkmcnt(0)
	v_mul_f32_e32 v3, s2, v3
	s_waitcnt vmcnt(0)
	s_delay_alu instid0(VALU_DEP_1)
	v_fmac_f32_e32 v3, s6, v2
	global_store_b32 v[0:1], v3, off
.LBB9_33:
	s_nop 0
	s_sendmsg sendmsg(MSG_DEALLOC_VGPRS)
	s_endpgm
	.section	.rodata,"a",@progbits
	.p2align	6, 0x0
	.amdhsa_kernel _ZN9rocsparseL16sddmm_ell_kernelILi512ELi4EfiifffEEv20rocsparse_operation_S1_16rocsparse_order_S2_T3_S3_S3_T2_NS_24const_host_device_scalarIT1_EEPKT4_lPKT5_lS7_PT6_PKS3_21rocsparse_index_base_b
		.amdhsa_group_segment_fixed_size 2048
		.amdhsa_private_segment_fixed_size 0
		.amdhsa_kernarg_size 104
		.amdhsa_user_sgpr_count 15
		.amdhsa_user_sgpr_dispatch_ptr 0
		.amdhsa_user_sgpr_queue_ptr 0
		.amdhsa_user_sgpr_kernarg_segment_ptr 1
		.amdhsa_user_sgpr_dispatch_id 0
		.amdhsa_user_sgpr_private_segment_size 0
		.amdhsa_wavefront_size32 1
		.amdhsa_uses_dynamic_stack 0
		.amdhsa_enable_private_segment 0
		.amdhsa_system_sgpr_workgroup_id_x 1
		.amdhsa_system_sgpr_workgroup_id_y 0
		.amdhsa_system_sgpr_workgroup_id_z 0
		.amdhsa_system_sgpr_workgroup_info 0
		.amdhsa_system_vgpr_workitem_id 0
		.amdhsa_next_free_vgpr 16
		.amdhsa_next_free_sgpr 17
		.amdhsa_reserve_vcc 1
		.amdhsa_float_round_mode_32 0
		.amdhsa_float_round_mode_16_64 0
		.amdhsa_float_denorm_mode_32 3
		.amdhsa_float_denorm_mode_16_64 3
		.amdhsa_dx10_clamp 1
		.amdhsa_ieee_mode 1
		.amdhsa_fp16_overflow 0
		.amdhsa_workgroup_processor_mode 1
		.amdhsa_memory_ordered 1
		.amdhsa_forward_progress 0
		.amdhsa_shared_vgpr_count 0
		.amdhsa_exception_fp_ieee_invalid_op 0
		.amdhsa_exception_fp_denorm_src 0
		.amdhsa_exception_fp_ieee_div_zero 0
		.amdhsa_exception_fp_ieee_overflow 0
		.amdhsa_exception_fp_ieee_underflow 0
		.amdhsa_exception_fp_ieee_inexact 0
		.amdhsa_exception_int_div_zero 0
	.end_amdhsa_kernel
	.section	.text._ZN9rocsparseL16sddmm_ell_kernelILi512ELi4EfiifffEEv20rocsparse_operation_S1_16rocsparse_order_S2_T3_S3_S3_T2_NS_24const_host_device_scalarIT1_EEPKT4_lPKT5_lS7_PT6_PKS3_21rocsparse_index_base_b,"axG",@progbits,_ZN9rocsparseL16sddmm_ell_kernelILi512ELi4EfiifffEEv20rocsparse_operation_S1_16rocsparse_order_S2_T3_S3_S3_T2_NS_24const_host_device_scalarIT1_EEPKT4_lPKT5_lS7_PT6_PKS3_21rocsparse_index_base_b,comdat
.Lfunc_end9:
	.size	_ZN9rocsparseL16sddmm_ell_kernelILi512ELi4EfiifffEEv20rocsparse_operation_S1_16rocsparse_order_S2_T3_S3_S3_T2_NS_24const_host_device_scalarIT1_EEPKT4_lPKT5_lS7_PT6_PKS3_21rocsparse_index_base_b, .Lfunc_end9-_ZN9rocsparseL16sddmm_ell_kernelILi512ELi4EfiifffEEv20rocsparse_operation_S1_16rocsparse_order_S2_T3_S3_S3_T2_NS_24const_host_device_scalarIT1_EEPKT4_lPKT5_lS7_PT6_PKS3_21rocsparse_index_base_b
                                        ; -- End function
	.section	.AMDGPU.csdata,"",@progbits
; Kernel info:
; codeLenInByte = 1336
; NumSgprs: 19
; NumVgprs: 16
; ScratchSize: 0
; MemoryBound: 0
; FloatMode: 240
; IeeeMode: 1
; LDSByteSize: 2048 bytes/workgroup (compile time only)
; SGPRBlocks: 2
; VGPRBlocks: 1
; NumSGPRsForWavesPerEU: 19
; NumVGPRsForWavesPerEU: 16
; Occupancy: 16
; WaveLimiterHint : 0
; COMPUTE_PGM_RSRC2:SCRATCH_EN: 0
; COMPUTE_PGM_RSRC2:USER_SGPR: 15
; COMPUTE_PGM_RSRC2:TRAP_HANDLER: 0
; COMPUTE_PGM_RSRC2:TGID_X_EN: 1
; COMPUTE_PGM_RSRC2:TGID_Y_EN: 0
; COMPUTE_PGM_RSRC2:TGID_Z_EN: 0
; COMPUTE_PGM_RSRC2:TIDIG_COMP_CNT: 0
	.section	.text._ZN9rocsparseL16sddmm_ell_kernelILi512ELi2EfiifffEEv20rocsparse_operation_S1_16rocsparse_order_S2_T3_S3_S3_T2_NS_24const_host_device_scalarIT1_EEPKT4_lPKT5_lS7_PT6_PKS3_21rocsparse_index_base_b,"axG",@progbits,_ZN9rocsparseL16sddmm_ell_kernelILi512ELi2EfiifffEEv20rocsparse_operation_S1_16rocsparse_order_S2_T3_S3_S3_T2_NS_24const_host_device_scalarIT1_EEPKT4_lPKT5_lS7_PT6_PKS3_21rocsparse_index_base_b,comdat
	.globl	_ZN9rocsparseL16sddmm_ell_kernelILi512ELi2EfiifffEEv20rocsparse_operation_S1_16rocsparse_order_S2_T3_S3_S3_T2_NS_24const_host_device_scalarIT1_EEPKT4_lPKT5_lS7_PT6_PKS3_21rocsparse_index_base_b ; -- Begin function _ZN9rocsparseL16sddmm_ell_kernelILi512ELi2EfiifffEEv20rocsparse_operation_S1_16rocsparse_order_S2_T3_S3_S3_T2_NS_24const_host_device_scalarIT1_EEPKT4_lPKT5_lS7_PT6_PKS3_21rocsparse_index_base_b
	.p2align	8
	.type	_ZN9rocsparseL16sddmm_ell_kernelILi512ELi2EfiifffEEv20rocsparse_operation_S1_16rocsparse_order_S2_T3_S3_S3_T2_NS_24const_host_device_scalarIT1_EEPKT4_lPKT5_lS7_PT6_PKS3_21rocsparse_index_base_b,@function
_ZN9rocsparseL16sddmm_ell_kernelILi512ELi2EfiifffEEv20rocsparse_operation_S1_16rocsparse_order_S2_T3_S3_S3_T2_NS_24const_host_device_scalarIT1_EEPKT4_lPKT5_lS7_PT6_PKS3_21rocsparse_index_base_b: ; @_ZN9rocsparseL16sddmm_ell_kernelILi512ELi2EfiifffEEv20rocsparse_operation_S1_16rocsparse_order_S2_T3_S3_S3_T2_NS_24const_host_device_scalarIT1_EEPKT4_lPKT5_lS7_PT6_PKS3_21rocsparse_index_base_b
; %bb.0:
	s_clause 0x2
	s_load_b64 s[8:9], s[0:1], 0x60
	s_load_b64 s[2:3], s[0:1], 0x20
	s_load_b128 s[4:7], s[0:1], 0x40
	s_waitcnt lgkmcnt(0)
	s_bitcmp1_b32 s9, 0
	s_cselect_b32 s9, -1, 0
	s_delay_alu instid0(SALU_CYCLE_1)
	s_and_b32 vcc_lo, exec_lo, s9
	s_xor_b32 s9, s9, -1
	s_cbranch_vccnz .LBB10_2
; %bb.1:
	s_load_b32 s2, s[2:3], 0x0
.LBB10_2:
	s_and_not1_b32 vcc_lo, exec_lo, s9
	s_cbranch_vccnz .LBB10_4
; %bb.3:
	s_load_b32 s6, s[6:7], 0x0
.LBB10_4:
	s_waitcnt lgkmcnt(0)
	v_cmp_eq_f32_e64 s3, s2, 0
	v_cmp_eq_f32_e64 s7, s6, 1.0
	s_delay_alu instid0(VALU_DEP_1) | instskip(NEXT) | instid1(SALU_CYCLE_1)
	s_and_b32 s3, s3, s7
	s_and_b32 vcc_lo, exec_lo, s3
	s_cbranch_vccnz .LBB10_31
; %bb.5:
	s_load_b64 s[12:13], s[0:1], 0x18
	v_lshrrev_b32_e32 v9, 1, v0
	s_mov_b32 s3, exec_lo
	s_delay_alu instid0(VALU_DEP_1) | instskip(SKIP_1) | instid1(VALU_DEP_1)
	v_lshl_or_b32 v4, s15, 8, v9
	s_waitcnt lgkmcnt(0)
	v_cmpx_gt_i32_e64 s13, v4
	s_cbranch_execz .LBB10_31
; %bb.6:
	s_load_b64 s[10:11], s[0:1], 0x58
	v_ashrrev_i32_e32 v5, 31, v4
	s_mov_b32 s13, -1
	s_delay_alu instid0(VALU_DEP_1) | instskip(SKIP_1) | instid1(VALU_DEP_1)
	v_lshlrev_b64 v[1:2], 2, v[4:5]
	s_waitcnt lgkmcnt(0)
	v_add_co_u32 v6, vcc_lo, s10, v1
	s_delay_alu instid0(VALU_DEP_2) | instskip(SKIP_3) | instid1(VALU_DEP_1)
	v_add_co_ci_u32_e32 v7, vcc_lo, s11, v2, vcc_lo
	global_load_b32 v3, v[6:7], off
	s_waitcnt vmcnt(0)
	v_subrev_nc_u32_e32 v3, s8, v3
	v_cmp_lt_i32_e32 vcc_lo, -1, v3
	s_and_b32 exec_lo, exec_lo, vcc_lo
	s_cbranch_execz .LBB10_31
; %bb.7:
	s_clause 0x1
	s_load_b128 s[8:11], s[0:1], 0x0
	s_load_b32 s14, s[0:1], 0x10
	v_sub_nc_u32_e32 v8, 0, v4
	s_delay_alu instid0(VALU_DEP_1)
	v_max_i32_e32 v4, v4, v8
	s_waitcnt lgkmcnt(0)
	s_cmp_eq_u32 s10, 1
	s_cselect_b32 s3, -1, 0
	s_cmpk_eq_i32 s8, 0x6f
	s_cselect_b32 s7, -1, 0
	s_cmpk_lg_i32 s8, 0x6f
	s_cselect_b32 s8, -1, 0
	s_abs_i32 s16, s14
	s_delay_alu instid0(SALU_CYCLE_1) | instskip(SKIP_2) | instid1(VALU_DEP_1)
	v_cvt_f32_u32_e32 v6, s16
	s_sub_i32 s14, 0, s16
	s_cmp_lg_u32 s10, 1
	v_rcp_iflag_f32_e32 v6, v6
	s_waitcnt_depctr 0xfff
	v_mul_f32_e32 v6, 0x4f7ffffe, v6
	s_delay_alu instid0(VALU_DEP_1) | instskip(NEXT) | instid1(VALU_DEP_1)
	v_cvt_u32_f32_e32 v6, v6
	v_mul_lo_u32 v7, s14, v6
	s_load_b64 s[14:15], s[0:1], 0x30
	s_delay_alu instid0(VALU_DEP_1) | instskip(NEXT) | instid1(VALU_DEP_1)
	v_mul_hi_u32 v7, v6, v7
	v_add_nc_u32_e32 v6, v6, v7
	s_delay_alu instid0(VALU_DEP_1) | instskip(NEXT) | instid1(VALU_DEP_1)
	v_mul_hi_u32 v6, v4, v6
	v_mul_lo_u32 v6, v6, s16
	s_delay_alu instid0(VALU_DEP_1) | instskip(NEXT) | instid1(VALU_DEP_1)
	v_sub_nc_u32_e32 v4, v4, v6
	v_subrev_nc_u32_e32 v6, s16, v4
	v_cmp_le_u32_e32 vcc_lo, s16, v4
	s_delay_alu instid0(VALU_DEP_2) | instskip(NEXT) | instid1(VALU_DEP_1)
	v_cndmask_b32_e32 v4, v4, v6, vcc_lo
	v_subrev_nc_u32_e32 v6, s16, v4
	v_cmp_le_u32_e32 vcc_lo, s16, v4
	s_delay_alu instid0(VALU_DEP_2) | instskip(NEXT) | instid1(VALU_DEP_1)
	v_cndmask_b32_e32 v4, v4, v6, vcc_lo
	v_xor_b32_e32 v4, v4, v5
	s_delay_alu instid0(VALU_DEP_1) | instskip(NEXT) | instid1(VALU_DEP_1)
	v_sub_nc_u32_e32 v7, v4, v5
	v_ashrrev_i32_e32 v8, 31, v7
	s_cbranch_scc0 .LBB10_11
; %bb.8:
	s_delay_alu instid0(VALU_DEP_1)
	v_dual_mov_b32 v5, v7 :: v_dual_mov_b32 v6, v8
	s_and_not1_b32 vcc_lo, exec_lo, s7
	s_cbranch_vccnz .LBB10_10
; %bb.9:
	s_waitcnt lgkmcnt(0)
	v_mul_lo_u32 v4, v8, s14
	v_mul_lo_u32 v10, v7, s15
	v_mad_u64_u32 v[5:6], null, v7, s14, 0
	s_delay_alu instid0(VALU_DEP_1)
	v_add3_u32 v6, v6, v10, v4
.LBB10_10:
	s_cbranch_execz .LBB10_12
	s_branch .LBB10_15
.LBB10_11:
                                        ; implicit-def: $vgpr5_vgpr6
	s_and_not1_b32 vcc_lo, exec_lo, s13
	s_cbranch_vccnz .LBB10_15
.LBB10_12:
	s_and_not1_b32 vcc_lo, exec_lo, s8
	s_cbranch_vccnz .LBB10_14
; %bb.13:
	s_waitcnt lgkmcnt(0)
	v_mul_lo_u32 v6, v8, s14
	v_mul_lo_u32 v8, v7, s15
	v_mad_u64_u32 v[4:5], null, v7, s14, 0
	s_delay_alu instid0(VALU_DEP_1) | instskip(NEXT) | instid1(VALU_DEP_1)
	v_add3_u32 v5, v5, v8, v6
	v_dual_mov_b32 v8, v5 :: v_dual_mov_b32 v7, v4
.LBB10_14:
	s_delay_alu instid0(VALU_DEP_1)
	v_dual_mov_b32 v5, v7 :: v_dual_mov_b32 v6, v8
.LBB10_15:
	s_cmp_eq_u32 s11, 1
	v_mov_b32_e32 v4, 0
	s_cselect_b32 s10, -1, 0
	s_cmpk_eq_i32 s9, 0x6f
	s_cselect_b32 s16, -1, 0
	s_cmpk_lg_i32 s9, 0x6f
	s_cselect_b32 s8, -1, 0
	s_cmp_lg_u32 s11, 1
	s_cbranch_scc0 .LBB10_19
; %bb.16:
	v_dual_mov_b32 v8, v4 :: v_dual_mov_b32 v7, v3
	s_and_not1_b32 vcc_lo, exec_lo, s8
	s_cbranch_vccnz .LBB10_18
; %bb.17:
	v_mad_u64_u32 v[7:8], null, v3, s4, 0
	s_delay_alu instid0(VALU_DEP_1) | instskip(NEXT) | instid1(VALU_DEP_1)
	v_mad_u64_u32 v[10:11], null, v3, s5, v[8:9]
	v_mov_b32_e32 v8, v10
.LBB10_18:
	s_cbranch_execz .LBB10_20
	s_branch .LBB10_23
.LBB10_19:
                                        ; implicit-def: $vgpr7_vgpr8
.LBB10_20:
	s_and_not1_b32 vcc_lo, exec_lo, s16
	s_cbranch_vccnz .LBB10_22
; %bb.21:
	v_mad_u64_u32 v[7:8], null, v3, s4, 0
	s_delay_alu instid0(VALU_DEP_1) | instskip(NEXT) | instid1(VALU_DEP_1)
	v_mov_b32_e32 v4, v8
	v_mad_u64_u32 v[10:11], null, v3, s5, v[4:5]
	s_delay_alu instid0(VALU_DEP_1) | instskip(NEXT) | instid1(VALU_DEP_1)
	v_mov_b32_e32 v8, v10
	v_dual_mov_b32 v3, v7 :: v_dual_mov_b32 v4, v8
.LBB10_22:
	s_delay_alu instid0(VALU_DEP_1)
	v_dual_mov_b32 v8, v4 :: v_dual_mov_b32 v7, v3
.LBB10_23:
	s_load_b64 s[8:9], s[0:1], 0x50
	v_dual_mov_b32 v11, 0 :: v_dual_and_b32 v10, 1, v0
	s_mov_b32 s13, exec_lo
	s_delay_alu instid0(VALU_DEP_1)
	v_cmpx_gt_i32_e64 s12, v10
	s_cbranch_execz .LBB10_27
; %bb.24:
	s_xor_b32 s3, s7, s3
	v_and_b32_e32 v0, 1, v0
	s_and_b32 s3, s3, exec_lo
	s_waitcnt lgkmcnt(0)
	s_cselect_b32 s15, 0, s15
	s_cselect_b32 s14, 1, s14
	s_xor_b32 s3, s16, s10
	v_mul_lo_u32 v4, s15, v0
	s_and_b32 s3, s3, exec_lo
	s_cselect_b32 s11, s5, 0
	v_mul_lo_u32 v3, s14, v0
	s_cselect_b32 s10, s4, 1
	s_load_b64 s[4:5], s[0:1], 0x28
	v_mul_lo_u32 v12, s11, v0
	v_mul_lo_u32 v11, s10, v0
	s_load_b64 s[0:1], s[0:1], 0x38
	v_lshlrev_b64 v[5:6], 2, v[5:6]
	v_lshlrev_b64 v[7:8], 2, v[7:8]
	;; [unrolled: 1-line block ×3, first 2 shown]
	s_lshl_b64 s[10:11], s[10:11], 3
	s_delay_alu instid0(VALU_DEP_4) | instskip(NEXT) | instid1(VALU_DEP_2)
	v_lshlrev_b64 v[11:12], 2, v[11:12]
	v_add_co_u32 v0, vcc_lo, v3, v5
	s_delay_alu instid0(VALU_DEP_3) | instskip(NEXT) | instid1(VALU_DEP_3)
	v_add_co_ci_u32_e32 v4, vcc_lo, v4, v6, vcc_lo
	v_add_co_u32 v5, vcc_lo, v11, v7
	v_mov_b32_e32 v11, 0
	v_add_co_ci_u32_e32 v6, vcc_lo, v12, v8, vcc_lo
	s_waitcnt lgkmcnt(0)
	v_add_co_u32 v3, vcc_lo, s4, v0
	v_add_co_ci_u32_e32 v4, vcc_lo, s5, v4, vcc_lo
	v_add_co_u32 v5, vcc_lo, s0, v5
	v_add_co_ci_u32_e32 v6, vcc_lo, s1, v6, vcc_lo
	v_mov_b32_e32 v0, v10
	s_mov_b32 s1, 0
	s_lshl_b64 s[4:5], s[14:15], 3
	.p2align	6
.LBB10_25:                              ; =>This Inner Loop Header: Depth=1
	global_load_b32 v7, v[3:4], off
	global_load_b32 v8, v[5:6], off
	v_add_nc_u32_e32 v0, 2, v0
	v_add_co_u32 v3, vcc_lo, v3, s4
	v_add_co_ci_u32_e32 v4, vcc_lo, s5, v4, vcc_lo
	v_add_co_u32 v5, vcc_lo, v5, s10
	s_delay_alu instid0(VALU_DEP_4) | instskip(SKIP_1) | instid1(VALU_DEP_2)
	v_cmp_le_i32_e64 s0, s12, v0
	v_add_co_ci_u32_e32 v6, vcc_lo, s11, v6, vcc_lo
	s_or_b32 s1, s0, s1
	s_waitcnt vmcnt(0)
	v_fmac_f32_e32 v11, v7, v8
	s_and_not1_b32 exec_lo, exec_lo, s1
	s_cbranch_execnz .LBB10_25
; %bb.26:
	s_or_b32 exec_lo, exec_lo, s1
.LBB10_27:
	s_delay_alu instid0(SALU_CYCLE_1) | instskip(SKIP_2) | instid1(VALU_DEP_2)
	s_or_b32 exec_lo, exec_lo, s13
	v_lshlrev_b32_e32 v0, 3, v9
	v_cmp_eq_u32_e32 vcc_lo, 0, v10
	v_lshl_or_b32 v3, v10, 2, v0
	ds_store_b32 v3, v11
	s_waitcnt lgkmcnt(0)
	s_barrier
	buffer_gl0_inv
	s_and_saveexec_b32 s0, vcc_lo
	s_cbranch_execz .LBB10_29
; %bb.28:
	ds_load_b32 v4, v0 offset:4
	ds_load_b32 v5, v3
	s_waitcnt lgkmcnt(0)
	v_add_f32_e32 v4, v4, v5
	ds_store_b32 v3, v4
.LBB10_29:
	s_or_b32 exec_lo, exec_lo, s0
	s_waitcnt lgkmcnt(0)
	s_barrier
	buffer_gl0_inv
	s_and_b32 exec_lo, exec_lo, vcc_lo
	s_cbranch_execz .LBB10_31
; %bb.30:
	v_add_co_u32 v1, vcc_lo, s8, v1
	v_add_co_ci_u32_e32 v2, vcc_lo, s9, v2, vcc_lo
	ds_load_b32 v0, v0
	global_load_b32 v3, v[1:2], off
	s_waitcnt lgkmcnt(0)
	v_mul_f32_e32 v0, s2, v0
	s_waitcnt vmcnt(0)
	s_delay_alu instid0(VALU_DEP_1)
	v_fmac_f32_e32 v0, s6, v3
	global_store_b32 v[1:2], v0, off
.LBB10_31:
	s_nop 0
	s_sendmsg sendmsg(MSG_DEALLOC_VGPRS)
	s_endpgm
	.section	.rodata,"a",@progbits
	.p2align	6, 0x0
	.amdhsa_kernel _ZN9rocsparseL16sddmm_ell_kernelILi512ELi2EfiifffEEv20rocsparse_operation_S1_16rocsparse_order_S2_T3_S3_S3_T2_NS_24const_host_device_scalarIT1_EEPKT4_lPKT5_lS7_PT6_PKS3_21rocsparse_index_base_b
		.amdhsa_group_segment_fixed_size 2048
		.amdhsa_private_segment_fixed_size 0
		.amdhsa_kernarg_size 104
		.amdhsa_user_sgpr_count 15
		.amdhsa_user_sgpr_dispatch_ptr 0
		.amdhsa_user_sgpr_queue_ptr 0
		.amdhsa_user_sgpr_kernarg_segment_ptr 1
		.amdhsa_user_sgpr_dispatch_id 0
		.amdhsa_user_sgpr_private_segment_size 0
		.amdhsa_wavefront_size32 1
		.amdhsa_uses_dynamic_stack 0
		.amdhsa_enable_private_segment 0
		.amdhsa_system_sgpr_workgroup_id_x 1
		.amdhsa_system_sgpr_workgroup_id_y 0
		.amdhsa_system_sgpr_workgroup_id_z 0
		.amdhsa_system_sgpr_workgroup_info 0
		.amdhsa_system_vgpr_workitem_id 0
		.amdhsa_next_free_vgpr 13
		.amdhsa_next_free_sgpr 17
		.amdhsa_reserve_vcc 1
		.amdhsa_float_round_mode_32 0
		.amdhsa_float_round_mode_16_64 0
		.amdhsa_float_denorm_mode_32 3
		.amdhsa_float_denorm_mode_16_64 3
		.amdhsa_dx10_clamp 1
		.amdhsa_ieee_mode 1
		.amdhsa_fp16_overflow 0
		.amdhsa_workgroup_processor_mode 1
		.amdhsa_memory_ordered 1
		.amdhsa_forward_progress 0
		.amdhsa_shared_vgpr_count 0
		.amdhsa_exception_fp_ieee_invalid_op 0
		.amdhsa_exception_fp_denorm_src 0
		.amdhsa_exception_fp_ieee_div_zero 0
		.amdhsa_exception_fp_ieee_overflow 0
		.amdhsa_exception_fp_ieee_underflow 0
		.amdhsa_exception_fp_ieee_inexact 0
		.amdhsa_exception_int_div_zero 0
	.end_amdhsa_kernel
	.section	.text._ZN9rocsparseL16sddmm_ell_kernelILi512ELi2EfiifffEEv20rocsparse_operation_S1_16rocsparse_order_S2_T3_S3_S3_T2_NS_24const_host_device_scalarIT1_EEPKT4_lPKT5_lS7_PT6_PKS3_21rocsparse_index_base_b,"axG",@progbits,_ZN9rocsparseL16sddmm_ell_kernelILi512ELi2EfiifffEEv20rocsparse_operation_S1_16rocsparse_order_S2_T3_S3_S3_T2_NS_24const_host_device_scalarIT1_EEPKT4_lPKT5_lS7_PT6_PKS3_21rocsparse_index_base_b,comdat
.Lfunc_end10:
	.size	_ZN9rocsparseL16sddmm_ell_kernelILi512ELi2EfiifffEEv20rocsparse_operation_S1_16rocsparse_order_S2_T3_S3_S3_T2_NS_24const_host_device_scalarIT1_EEPKT4_lPKT5_lS7_PT6_PKS3_21rocsparse_index_base_b, .Lfunc_end10-_ZN9rocsparseL16sddmm_ell_kernelILi512ELi2EfiifffEEv20rocsparse_operation_S1_16rocsparse_order_S2_T3_S3_S3_T2_NS_24const_host_device_scalarIT1_EEPKT4_lPKT5_lS7_PT6_PKS3_21rocsparse_index_base_b
                                        ; -- End function
	.section	.AMDGPU.csdata,"",@progbits
; Kernel info:
; codeLenInByte = 1240
; NumSgprs: 19
; NumVgprs: 13
; ScratchSize: 0
; MemoryBound: 0
; FloatMode: 240
; IeeeMode: 1
; LDSByteSize: 2048 bytes/workgroup (compile time only)
; SGPRBlocks: 2
; VGPRBlocks: 1
; NumSGPRsForWavesPerEU: 19
; NumVGPRsForWavesPerEU: 13
; Occupancy: 16
; WaveLimiterHint : 0
; COMPUTE_PGM_RSRC2:SCRATCH_EN: 0
; COMPUTE_PGM_RSRC2:USER_SGPR: 15
; COMPUTE_PGM_RSRC2:TRAP_HANDLER: 0
; COMPUTE_PGM_RSRC2:TGID_X_EN: 1
; COMPUTE_PGM_RSRC2:TGID_Y_EN: 0
; COMPUTE_PGM_RSRC2:TGID_Z_EN: 0
; COMPUTE_PGM_RSRC2:TIDIG_COMP_CNT: 0
	.section	.text._ZN9rocsparseL16sddmm_ell_kernelILi512ELi1EfiifffEEv20rocsparse_operation_S1_16rocsparse_order_S2_T3_S3_S3_T2_NS_24const_host_device_scalarIT1_EEPKT4_lPKT5_lS7_PT6_PKS3_21rocsparse_index_base_b,"axG",@progbits,_ZN9rocsparseL16sddmm_ell_kernelILi512ELi1EfiifffEEv20rocsparse_operation_S1_16rocsparse_order_S2_T3_S3_S3_T2_NS_24const_host_device_scalarIT1_EEPKT4_lPKT5_lS7_PT6_PKS3_21rocsparse_index_base_b,comdat
	.globl	_ZN9rocsparseL16sddmm_ell_kernelILi512ELi1EfiifffEEv20rocsparse_operation_S1_16rocsparse_order_S2_T3_S3_S3_T2_NS_24const_host_device_scalarIT1_EEPKT4_lPKT5_lS7_PT6_PKS3_21rocsparse_index_base_b ; -- Begin function _ZN9rocsparseL16sddmm_ell_kernelILi512ELi1EfiifffEEv20rocsparse_operation_S1_16rocsparse_order_S2_T3_S3_S3_T2_NS_24const_host_device_scalarIT1_EEPKT4_lPKT5_lS7_PT6_PKS3_21rocsparse_index_base_b
	.p2align	8
	.type	_ZN9rocsparseL16sddmm_ell_kernelILi512ELi1EfiifffEEv20rocsparse_operation_S1_16rocsparse_order_S2_T3_S3_S3_T2_NS_24const_host_device_scalarIT1_EEPKT4_lPKT5_lS7_PT6_PKS3_21rocsparse_index_base_b,@function
_ZN9rocsparseL16sddmm_ell_kernelILi512ELi1EfiifffEEv20rocsparse_operation_S1_16rocsparse_order_S2_T3_S3_S3_T2_NS_24const_host_device_scalarIT1_EEPKT4_lPKT5_lS7_PT6_PKS3_21rocsparse_index_base_b: ; @_ZN9rocsparseL16sddmm_ell_kernelILi512ELi1EfiifffEEv20rocsparse_operation_S1_16rocsparse_order_S2_T3_S3_S3_T2_NS_24const_host_device_scalarIT1_EEPKT4_lPKT5_lS7_PT6_PKS3_21rocsparse_index_base_b
; %bb.0:
	s_clause 0x2
	s_load_b64 s[8:9], s[0:1], 0x60
	s_load_b64 s[2:3], s[0:1], 0x20
	s_load_b128 s[4:7], s[0:1], 0x40
	s_waitcnt lgkmcnt(0)
	s_bitcmp1_b32 s9, 0
	s_cselect_b32 s9, -1, 0
	s_delay_alu instid0(SALU_CYCLE_1)
	s_and_b32 vcc_lo, exec_lo, s9
	s_xor_b32 s9, s9, -1
	s_cbranch_vccnz .LBB11_2
; %bb.1:
	s_load_b32 s2, s[2:3], 0x0
.LBB11_2:
	s_and_not1_b32 vcc_lo, exec_lo, s9
	s_cbranch_vccnz .LBB11_4
; %bb.3:
	s_load_b32 s6, s[6:7], 0x0
.LBB11_4:
	s_waitcnt lgkmcnt(0)
	v_cmp_eq_f32_e64 s3, s2, 0
	v_cmp_eq_f32_e64 s7, s6, 1.0
	s_delay_alu instid0(VALU_DEP_1) | instskip(NEXT) | instid1(SALU_CYCLE_1)
	s_and_b32 s3, s3, s7
	s_and_b32 vcc_lo, exec_lo, s3
	s_cbranch_vccnz .LBB11_28
; %bb.5:
	s_load_b64 s[12:13], s[0:1], 0x18
	v_lshl_or_b32 v4, s15, 9, v0
	s_mov_b32 s3, exec_lo
	s_waitcnt lgkmcnt(0)
	s_delay_alu instid0(VALU_DEP_1)
	v_cmpx_gt_i32_e64 s13, v4
	s_cbranch_execz .LBB11_28
; %bb.6:
	s_load_b64 s[10:11], s[0:1], 0x58
	v_ashrrev_i32_e32 v5, 31, v4
	s_mov_b32 s13, -1
	s_delay_alu instid0(VALU_DEP_1) | instskip(SKIP_1) | instid1(VALU_DEP_1)
	v_lshlrev_b64 v[1:2], 2, v[4:5]
	s_waitcnt lgkmcnt(0)
	v_add_co_u32 v6, vcc_lo, s10, v1
	s_delay_alu instid0(VALU_DEP_2) | instskip(SKIP_3) | instid1(VALU_DEP_1)
	v_add_co_ci_u32_e32 v7, vcc_lo, s11, v2, vcc_lo
	global_load_b32 v3, v[6:7], off
	s_waitcnt vmcnt(0)
	v_subrev_nc_u32_e32 v3, s8, v3
	v_cmp_lt_i32_e32 vcc_lo, -1, v3
	s_and_b32 exec_lo, exec_lo, vcc_lo
	s_cbranch_execz .LBB11_28
; %bb.7:
	s_clause 0x1
	s_load_b128 s[8:11], s[0:1], 0x0
	s_load_b32 s14, s[0:1], 0x10
	v_sub_nc_u32_e32 v8, 0, v4
	s_delay_alu instid0(VALU_DEP_1)
	v_max_i32_e32 v4, v4, v8
	s_waitcnt lgkmcnt(0)
	s_cmp_eq_u32 s10, 1
	s_cselect_b32 s3, -1, 0
	s_cmpk_eq_i32 s8, 0x6f
	s_cselect_b32 s7, -1, 0
	s_cmpk_lg_i32 s8, 0x6f
	s_cselect_b32 s8, -1, 0
	s_abs_i32 s16, s14
	s_delay_alu instid0(SALU_CYCLE_1) | instskip(SKIP_2) | instid1(VALU_DEP_1)
	v_cvt_f32_u32_e32 v6, s16
	s_sub_i32 s14, 0, s16
	s_cmp_lg_u32 s10, 1
	v_rcp_iflag_f32_e32 v6, v6
	s_waitcnt_depctr 0xfff
	v_mul_f32_e32 v6, 0x4f7ffffe, v6
	s_delay_alu instid0(VALU_DEP_1) | instskip(NEXT) | instid1(VALU_DEP_1)
	v_cvt_u32_f32_e32 v6, v6
	v_mul_lo_u32 v7, s14, v6
	s_load_b64 s[14:15], s[0:1], 0x30
	s_delay_alu instid0(VALU_DEP_1) | instskip(NEXT) | instid1(VALU_DEP_1)
	v_mul_hi_u32 v7, v6, v7
	v_add_nc_u32_e32 v6, v6, v7
	s_delay_alu instid0(VALU_DEP_1) | instskip(NEXT) | instid1(VALU_DEP_1)
	v_mul_hi_u32 v6, v4, v6
	v_mul_lo_u32 v6, v6, s16
	s_delay_alu instid0(VALU_DEP_1) | instskip(NEXT) | instid1(VALU_DEP_1)
	v_sub_nc_u32_e32 v4, v4, v6
	v_subrev_nc_u32_e32 v6, s16, v4
	v_cmp_le_u32_e32 vcc_lo, s16, v4
	s_delay_alu instid0(VALU_DEP_2) | instskip(NEXT) | instid1(VALU_DEP_1)
	v_cndmask_b32_e32 v4, v4, v6, vcc_lo
	v_subrev_nc_u32_e32 v6, s16, v4
	v_cmp_le_u32_e32 vcc_lo, s16, v4
	s_delay_alu instid0(VALU_DEP_2) | instskip(NEXT) | instid1(VALU_DEP_1)
	v_cndmask_b32_e32 v4, v4, v6, vcc_lo
	v_xor_b32_e32 v4, v4, v5
	s_delay_alu instid0(VALU_DEP_1) | instskip(NEXT) | instid1(VALU_DEP_1)
	v_sub_nc_u32_e32 v7, v4, v5
	v_ashrrev_i32_e32 v8, 31, v7
	s_cbranch_scc0 .LBB11_11
; %bb.8:
	s_delay_alu instid0(VALU_DEP_1)
	v_dual_mov_b32 v5, v7 :: v_dual_mov_b32 v6, v8
	s_and_not1_b32 vcc_lo, exec_lo, s7
	s_cbranch_vccnz .LBB11_10
; %bb.9:
	s_waitcnt lgkmcnt(0)
	v_mul_lo_u32 v4, v8, s14
	v_mul_lo_u32 v9, v7, s15
	v_mad_u64_u32 v[5:6], null, v7, s14, 0
	s_delay_alu instid0(VALU_DEP_1)
	v_add3_u32 v6, v6, v9, v4
.LBB11_10:
	s_cbranch_execz .LBB11_12
	s_branch .LBB11_15
.LBB11_11:
                                        ; implicit-def: $vgpr5_vgpr6
	s_and_not1_b32 vcc_lo, exec_lo, s13
	s_cbranch_vccnz .LBB11_15
.LBB11_12:
	s_and_not1_b32 vcc_lo, exec_lo, s8
	s_cbranch_vccnz .LBB11_14
; %bb.13:
	s_waitcnt lgkmcnt(0)
	v_mul_lo_u32 v6, v8, s14
	v_mul_lo_u32 v8, v7, s15
	v_mad_u64_u32 v[4:5], null, v7, s14, 0
	s_delay_alu instid0(VALU_DEP_1) | instskip(NEXT) | instid1(VALU_DEP_1)
	v_add3_u32 v5, v5, v8, v6
	v_dual_mov_b32 v8, v5 :: v_dual_mov_b32 v7, v4
.LBB11_14:
	s_delay_alu instid0(VALU_DEP_1)
	v_dual_mov_b32 v5, v7 :: v_dual_mov_b32 v6, v8
.LBB11_15:
	s_cmp_eq_u32 s11, 1
	v_mov_b32_e32 v4, 0
	s_cselect_b32 s10, -1, 0
	s_cmpk_eq_i32 s9, 0x6f
	s_cselect_b32 s13, -1, 0
	s_cmpk_lg_i32 s9, 0x6f
	s_cselect_b32 s8, -1, 0
	s_cmp_lg_u32 s11, 1
	s_cbranch_scc0 .LBB11_19
; %bb.16:
	v_dual_mov_b32 v8, v4 :: v_dual_mov_b32 v7, v3
	s_and_not1_b32 vcc_lo, exec_lo, s8
	s_cbranch_vccnz .LBB11_18
; %bb.17:
	v_mad_u64_u32 v[7:8], null, v3, s4, 0
	s_delay_alu instid0(VALU_DEP_1) | instskip(NEXT) | instid1(VALU_DEP_1)
	v_mad_u64_u32 v[9:10], null, v3, s5, v[8:9]
	v_mov_b32_e32 v8, v9
.LBB11_18:
	s_cbranch_execz .LBB11_20
	s_branch .LBB11_23
.LBB11_19:
                                        ; implicit-def: $vgpr7_vgpr8
.LBB11_20:
	s_and_not1_b32 vcc_lo, exec_lo, s13
	s_cbranch_vccnz .LBB11_22
; %bb.21:
	v_mad_u64_u32 v[7:8], null, v3, s4, 0
	s_delay_alu instid0(VALU_DEP_1) | instskip(NEXT) | instid1(VALU_DEP_1)
	v_mov_b32_e32 v4, v8
	v_mad_u64_u32 v[8:9], null, v3, s5, v[4:5]
	s_delay_alu instid0(VALU_DEP_1)
	v_dual_mov_b32 v3, v7 :: v_dual_mov_b32 v4, v8
.LBB11_22:
	s_delay_alu instid0(VALU_DEP_1)
	v_dual_mov_b32 v8, v4 :: v_dual_mov_b32 v7, v3
.LBB11_23:
	s_load_b64 s[8:9], s[0:1], 0x50
	s_cmp_lt_i32 s12, 1
	s_cbranch_scc1 .LBB11_26
; %bb.24:
	s_clause 0x1
	s_load_b64 s[16:17], s[0:1], 0x38
	s_load_b64 s[0:1], s[0:1], 0x28
	v_lshlrev_b64 v[3:4], 2, v[7:8]
	v_lshlrev_b64 v[5:6], 2, v[5:6]
	s_xor_b32 s3, s7, s3
	v_mov_b32_e32 v7, 0
	s_and_b32 s3, s3, exec_lo
	s_waitcnt lgkmcnt(0)
	s_cselect_b32 s15, 0, s15
	s_cselect_b32 s14, 1, s14
	s_xor_b32 s3, s13, s10
	s_delay_alu instid0(SALU_CYCLE_1) | instskip(SKIP_2) | instid1(SALU_CYCLE_1)
	s_and_b32 s3, s3, exec_lo
	s_cselect_b32 s5, s5, 0
	s_cselect_b32 s4, s4, 1
	s_lshl_b64 s[4:5], s[4:5], 2
	v_add_co_u32 v3, vcc_lo, s16, v3
	v_add_co_ci_u32_e32 v4, vcc_lo, s17, v4, vcc_lo
	v_add_co_u32 v5, vcc_lo, s0, v5
	v_add_co_ci_u32_e32 v6, vcc_lo, s1, v6, vcc_lo
	s_lshl_b64 s[0:1], s[14:15], 2
.LBB11_25:                              ; =>This Inner Loop Header: Depth=1
	global_load_b32 v8, v[5:6], off
	global_load_b32 v9, v[3:4], off
	v_add_co_u32 v5, vcc_lo, v5, s0
	v_add_co_ci_u32_e32 v6, vcc_lo, s1, v6, vcc_lo
	v_add_co_u32 v3, vcc_lo, v3, s4
	v_add_co_ci_u32_e32 v4, vcc_lo, s5, v4, vcc_lo
	s_add_i32 s12, s12, -1
	s_delay_alu instid0(SALU_CYCLE_1)
	s_cmp_eq_u32 s12, 0
	s_waitcnt vmcnt(0)
	v_fmac_f32_e32 v7, v8, v9
	s_cbranch_scc0 .LBB11_25
	s_branch .LBB11_27
.LBB11_26:
	v_mov_b32_e32 v7, 0
.LBB11_27:
	v_lshlrev_b32_e32 v3, 2, v0
	s_waitcnt lgkmcnt(0)
	v_add_co_u32 v0, vcc_lo, s8, v1
	v_add_co_ci_u32_e32 v1, vcc_lo, s9, v2, vcc_lo
	ds_store_b32 v3, v7
	s_waitcnt lgkmcnt(0)
	s_barrier
	buffer_gl0_inv
	global_load_b32 v2, v[0:1], off
	ds_load_b32 v3, v3
	s_waitcnt lgkmcnt(0)
	v_mul_f32_e32 v3, s2, v3
	s_waitcnt vmcnt(0)
	s_delay_alu instid0(VALU_DEP_1)
	v_fmac_f32_e32 v3, s6, v2
	global_store_b32 v[0:1], v3, off
.LBB11_28:
	s_nop 0
	s_sendmsg sendmsg(MSG_DEALLOC_VGPRS)
	s_endpgm
	.section	.rodata,"a",@progbits
	.p2align	6, 0x0
	.amdhsa_kernel _ZN9rocsparseL16sddmm_ell_kernelILi512ELi1EfiifffEEv20rocsparse_operation_S1_16rocsparse_order_S2_T3_S3_S3_T2_NS_24const_host_device_scalarIT1_EEPKT4_lPKT5_lS7_PT6_PKS3_21rocsparse_index_base_b
		.amdhsa_group_segment_fixed_size 2048
		.amdhsa_private_segment_fixed_size 0
		.amdhsa_kernarg_size 104
		.amdhsa_user_sgpr_count 15
		.amdhsa_user_sgpr_dispatch_ptr 0
		.amdhsa_user_sgpr_queue_ptr 0
		.amdhsa_user_sgpr_kernarg_segment_ptr 1
		.amdhsa_user_sgpr_dispatch_id 0
		.amdhsa_user_sgpr_private_segment_size 0
		.amdhsa_wavefront_size32 1
		.amdhsa_uses_dynamic_stack 0
		.amdhsa_enable_private_segment 0
		.amdhsa_system_sgpr_workgroup_id_x 1
		.amdhsa_system_sgpr_workgroup_id_y 0
		.amdhsa_system_sgpr_workgroup_id_z 0
		.amdhsa_system_sgpr_workgroup_info 0
		.amdhsa_system_vgpr_workitem_id 0
		.amdhsa_next_free_vgpr 11
		.amdhsa_next_free_sgpr 18
		.amdhsa_reserve_vcc 1
		.amdhsa_float_round_mode_32 0
		.amdhsa_float_round_mode_16_64 0
		.amdhsa_float_denorm_mode_32 3
		.amdhsa_float_denorm_mode_16_64 3
		.amdhsa_dx10_clamp 1
		.amdhsa_ieee_mode 1
		.amdhsa_fp16_overflow 0
		.amdhsa_workgroup_processor_mode 1
		.amdhsa_memory_ordered 1
		.amdhsa_forward_progress 0
		.amdhsa_shared_vgpr_count 0
		.amdhsa_exception_fp_ieee_invalid_op 0
		.amdhsa_exception_fp_denorm_src 0
		.amdhsa_exception_fp_ieee_div_zero 0
		.amdhsa_exception_fp_ieee_overflow 0
		.amdhsa_exception_fp_ieee_underflow 0
		.amdhsa_exception_fp_ieee_inexact 0
		.amdhsa_exception_int_div_zero 0
	.end_amdhsa_kernel
	.section	.text._ZN9rocsparseL16sddmm_ell_kernelILi512ELi1EfiifffEEv20rocsparse_operation_S1_16rocsparse_order_S2_T3_S3_S3_T2_NS_24const_host_device_scalarIT1_EEPKT4_lPKT5_lS7_PT6_PKS3_21rocsparse_index_base_b,"axG",@progbits,_ZN9rocsparseL16sddmm_ell_kernelILi512ELi1EfiifffEEv20rocsparse_operation_S1_16rocsparse_order_S2_T3_S3_S3_T2_NS_24const_host_device_scalarIT1_EEPKT4_lPKT5_lS7_PT6_PKS3_21rocsparse_index_base_b,comdat
.Lfunc_end11:
	.size	_ZN9rocsparseL16sddmm_ell_kernelILi512ELi1EfiifffEEv20rocsparse_operation_S1_16rocsparse_order_S2_T3_S3_S3_T2_NS_24const_host_device_scalarIT1_EEPKT4_lPKT5_lS7_PT6_PKS3_21rocsparse_index_base_b, .Lfunc_end11-_ZN9rocsparseL16sddmm_ell_kernelILi512ELi1EfiifffEEv20rocsparse_operation_S1_16rocsparse_order_S2_T3_S3_S3_T2_NS_24const_host_device_scalarIT1_EEPKT4_lPKT5_lS7_PT6_PKS3_21rocsparse_index_base_b
                                        ; -- End function
	.section	.AMDGPU.csdata,"",@progbits
; Kernel info:
; codeLenInByte = 1032
; NumSgprs: 20
; NumVgprs: 11
; ScratchSize: 0
; MemoryBound: 0
; FloatMode: 240
; IeeeMode: 1
; LDSByteSize: 2048 bytes/workgroup (compile time only)
; SGPRBlocks: 2
; VGPRBlocks: 1
; NumSGPRsForWavesPerEU: 20
; NumVGPRsForWavesPerEU: 11
; Occupancy: 16
; WaveLimiterHint : 0
; COMPUTE_PGM_RSRC2:SCRATCH_EN: 0
; COMPUTE_PGM_RSRC2:USER_SGPR: 15
; COMPUTE_PGM_RSRC2:TRAP_HANDLER: 0
; COMPUTE_PGM_RSRC2:TGID_X_EN: 1
; COMPUTE_PGM_RSRC2:TGID_Y_EN: 0
; COMPUTE_PGM_RSRC2:TGID_Z_EN: 0
; COMPUTE_PGM_RSRC2:TIDIG_COMP_CNT: 0
	.section	.text._ZN9rocsparseL23sddmm_ell_sample_kernelILi16ELi32EdidEEvT2_S1_PKT3_lS1_PS2_PKS1_21rocsparse_index_base_,"axG",@progbits,_ZN9rocsparseL23sddmm_ell_sample_kernelILi16ELi32EdidEEvT2_S1_PKT3_lS1_PS2_PKS1_21rocsparse_index_base_,comdat
	.globl	_ZN9rocsparseL23sddmm_ell_sample_kernelILi16ELi32EdidEEvT2_S1_PKT3_lS1_PS2_PKS1_21rocsparse_index_base_ ; -- Begin function _ZN9rocsparseL23sddmm_ell_sample_kernelILi16ELi32EdidEEvT2_S1_PKT3_lS1_PS2_PKS1_21rocsparse_index_base_
	.p2align	8
	.type	_ZN9rocsparseL23sddmm_ell_sample_kernelILi16ELi32EdidEEvT2_S1_PKT3_lS1_PS2_PKS1_21rocsparse_index_base_,@function
_ZN9rocsparseL23sddmm_ell_sample_kernelILi16ELi32EdidEEvT2_S1_PKT3_lS1_PS2_PKS1_21rocsparse_index_base_: ; @_ZN9rocsparseL23sddmm_ell_sample_kernelILi16ELi32EdidEEvT2_S1_PKT3_lS1_PS2_PKS1_21rocsparse_index_base_
; %bb.0:
	s_load_b32 s2, s[0:1], 0x18
	v_lshrrev_b32_e32 v1, 5, v0
	s_delay_alu instid0(VALU_DEP_1) | instskip(SKIP_1) | instid1(VALU_DEP_1)
	v_lshl_or_b32 v1, s15, 4, v1
	s_waitcnt lgkmcnt(0)
	v_cmp_gt_u32_e32 vcc_lo, s2, v1
	s_and_saveexec_b32 s2, vcc_lo
	s_cbranch_execz .LBB12_6
; %bb.1:
	s_load_b64 s[2:3], s[0:1], 0x0
	v_and_b32_e32 v4, 31, v0
	s_waitcnt lgkmcnt(0)
	s_delay_alu instid0(VALU_DEP_1)
	v_cmp_gt_i32_e32 vcc_lo, s2, v4
	s_and_b32 exec_lo, exec_lo, vcc_lo
	s_cbranch_execz .LBB12_6
; %bb.2:
	s_clause 0x2
	s_load_b128 s[8:11], s[0:1], 0x8
	s_load_b128 s[4:7], s[0:1], 0x20
	s_load_b32 s1, s[0:1], 0x30
	v_and_b32_e32 v0, 31, v0
	v_mul_lo_u32 v5, v1, s2
	s_delay_alu instid0(VALU_DEP_2) | instskip(SKIP_1) | instid1(VALU_DEP_1)
	v_dual_mov_b32 v1, 0 :: v_dual_lshlrev_b32 v0, 3, v0
	s_waitcnt lgkmcnt(0)
	v_add_co_u32 v2, s0, s8, v0
	s_delay_alu instid0(VALU_DEP_1)
	v_add_co_ci_u32_e64 v3, null, s9, 0, s0
	s_lshl_b64 s[8:9], s[10:11], 3
	s_mov_b32 s10, 0
	s_set_inst_prefetch_distance 0x1
	s_branch .LBB12_4
	.p2align	6
.LBB12_3:                               ;   in Loop: Header=BB12_4 Depth=1
	s_or_b32 exec_lo, exec_lo, s0
	v_add_nc_u32_e32 v4, 32, v4
	v_add_co_u32 v2, s0, 0x100, v2
	s_delay_alu instid0(VALU_DEP_1) | instskip(NEXT) | instid1(VALU_DEP_3)
	v_add_co_ci_u32_e64 v3, s0, 0, v3, s0
	v_cmp_le_i32_e32 vcc_lo, s2, v4
	s_or_b32 s10, vcc_lo, s10
	s_delay_alu instid0(SALU_CYCLE_1)
	s_and_not1_b32 exec_lo, exec_lo, s10
	s_cbranch_execz .LBB12_6
.LBB12_4:                               ; =>This Inner Loop Header: Depth=1
	v_add_nc_u32_e32 v0, v5, v4
	s_delay_alu instid0(VALU_DEP_1) | instskip(NEXT) | instid1(VALU_DEP_1)
	v_lshlrev_b64 v[6:7], 2, v[0:1]
	v_add_co_u32 v6, vcc_lo, s6, v6
	s_delay_alu instid0(VALU_DEP_2) | instskip(SKIP_3) | instid1(VALU_DEP_1)
	v_add_co_ci_u32_e32 v7, vcc_lo, s7, v7, vcc_lo
	global_load_b32 v6, v[6:7], off
	s_waitcnt vmcnt(0)
	v_subrev_nc_u32_e32 v6, s1, v6
	v_cmp_lt_i32_e32 vcc_lo, -1, v6
	v_cmp_gt_i32_e64 s0, s3, v6
	s_delay_alu instid0(VALU_DEP_1) | instskip(NEXT) | instid1(SALU_CYCLE_1)
	s_and_b32 s11, vcc_lo, s0
	s_and_saveexec_b32 s0, s11
	s_cbranch_execz .LBB12_3
; %bb.5:                                ;   in Loop: Header=BB12_4 Depth=1
	v_mad_u64_u32 v[7:8], null, s8, v6, v[2:3]
	s_delay_alu instid0(VALU_DEP_1) | instskip(NEXT) | instid1(VALU_DEP_1)
	v_mad_u64_u32 v[9:10], null, s9, v6, v[8:9]
	v_mov_b32_e32 v8, v9
	global_load_b64 v[6:7], v[7:8], off
	v_lshlrev_b64 v[8:9], 3, v[0:1]
	s_delay_alu instid0(VALU_DEP_1) | instskip(NEXT) | instid1(VALU_DEP_2)
	v_add_co_u32 v8, vcc_lo, s4, v8
	v_add_co_ci_u32_e32 v9, vcc_lo, s5, v9, vcc_lo
	s_waitcnt vmcnt(0)
	global_store_b64 v[8:9], v[6:7], off
	s_branch .LBB12_3
.LBB12_6:
	s_set_inst_prefetch_distance 0x2
	s_nop 0
	s_sendmsg sendmsg(MSG_DEALLOC_VGPRS)
	s_endpgm
	.section	.rodata,"a",@progbits
	.p2align	6, 0x0
	.amdhsa_kernel _ZN9rocsparseL23sddmm_ell_sample_kernelILi16ELi32EdidEEvT2_S1_PKT3_lS1_PS2_PKS1_21rocsparse_index_base_
		.amdhsa_group_segment_fixed_size 0
		.amdhsa_private_segment_fixed_size 0
		.amdhsa_kernarg_size 52
		.amdhsa_user_sgpr_count 15
		.amdhsa_user_sgpr_dispatch_ptr 0
		.amdhsa_user_sgpr_queue_ptr 0
		.amdhsa_user_sgpr_kernarg_segment_ptr 1
		.amdhsa_user_sgpr_dispatch_id 0
		.amdhsa_user_sgpr_private_segment_size 0
		.amdhsa_wavefront_size32 1
		.amdhsa_uses_dynamic_stack 0
		.amdhsa_enable_private_segment 0
		.amdhsa_system_sgpr_workgroup_id_x 1
		.amdhsa_system_sgpr_workgroup_id_y 0
		.amdhsa_system_sgpr_workgroup_id_z 0
		.amdhsa_system_sgpr_workgroup_info 0
		.amdhsa_system_vgpr_workitem_id 0
		.amdhsa_next_free_vgpr 11
		.amdhsa_next_free_sgpr 16
		.amdhsa_reserve_vcc 1
		.amdhsa_float_round_mode_32 0
		.amdhsa_float_round_mode_16_64 0
		.amdhsa_float_denorm_mode_32 3
		.amdhsa_float_denorm_mode_16_64 3
		.amdhsa_dx10_clamp 1
		.amdhsa_ieee_mode 1
		.amdhsa_fp16_overflow 0
		.amdhsa_workgroup_processor_mode 1
		.amdhsa_memory_ordered 1
		.amdhsa_forward_progress 0
		.amdhsa_shared_vgpr_count 0
		.amdhsa_exception_fp_ieee_invalid_op 0
		.amdhsa_exception_fp_denorm_src 0
		.amdhsa_exception_fp_ieee_div_zero 0
		.amdhsa_exception_fp_ieee_overflow 0
		.amdhsa_exception_fp_ieee_underflow 0
		.amdhsa_exception_fp_ieee_inexact 0
		.amdhsa_exception_int_div_zero 0
	.end_amdhsa_kernel
	.section	.text._ZN9rocsparseL23sddmm_ell_sample_kernelILi16ELi32EdidEEvT2_S1_PKT3_lS1_PS2_PKS1_21rocsparse_index_base_,"axG",@progbits,_ZN9rocsparseL23sddmm_ell_sample_kernelILi16ELi32EdidEEvT2_S1_PKT3_lS1_PS2_PKS1_21rocsparse_index_base_,comdat
.Lfunc_end12:
	.size	_ZN9rocsparseL23sddmm_ell_sample_kernelILi16ELi32EdidEEvT2_S1_PKT3_lS1_PS2_PKS1_21rocsparse_index_base_, .Lfunc_end12-_ZN9rocsparseL23sddmm_ell_sample_kernelILi16ELi32EdidEEvT2_S1_PKT3_lS1_PS2_PKS1_21rocsparse_index_base_
                                        ; -- End function
	.section	.AMDGPU.csdata,"",@progbits
; Kernel info:
; codeLenInByte = 380
; NumSgprs: 18
; NumVgprs: 11
; ScratchSize: 0
; MemoryBound: 0
; FloatMode: 240
; IeeeMode: 1
; LDSByteSize: 0 bytes/workgroup (compile time only)
; SGPRBlocks: 2
; VGPRBlocks: 1
; NumSGPRsForWavesPerEU: 18
; NumVGPRsForWavesPerEU: 11
; Occupancy: 16
; WaveLimiterHint : 1
; COMPUTE_PGM_RSRC2:SCRATCH_EN: 0
; COMPUTE_PGM_RSRC2:USER_SGPR: 15
; COMPUTE_PGM_RSRC2:TRAP_HANDLER: 0
; COMPUTE_PGM_RSRC2:TGID_X_EN: 1
; COMPUTE_PGM_RSRC2:TGID_Y_EN: 0
; COMPUTE_PGM_RSRC2:TGID_Z_EN: 0
; COMPUTE_PGM_RSRC2:TIDIG_COMP_CNT: 0
	.section	.text._ZN9rocsparseL23sddmm_ell_sample_kernelILi16ELi64EdidEEvT2_S1_PKT3_lS1_PS2_PKS1_21rocsparse_index_base_,"axG",@progbits,_ZN9rocsparseL23sddmm_ell_sample_kernelILi16ELi64EdidEEvT2_S1_PKT3_lS1_PS2_PKS1_21rocsparse_index_base_,comdat
	.globl	_ZN9rocsparseL23sddmm_ell_sample_kernelILi16ELi64EdidEEvT2_S1_PKT3_lS1_PS2_PKS1_21rocsparse_index_base_ ; -- Begin function _ZN9rocsparseL23sddmm_ell_sample_kernelILi16ELi64EdidEEvT2_S1_PKT3_lS1_PS2_PKS1_21rocsparse_index_base_
	.p2align	8
	.type	_ZN9rocsparseL23sddmm_ell_sample_kernelILi16ELi64EdidEEvT2_S1_PKT3_lS1_PS2_PKS1_21rocsparse_index_base_,@function
_ZN9rocsparseL23sddmm_ell_sample_kernelILi16ELi64EdidEEvT2_S1_PKT3_lS1_PS2_PKS1_21rocsparse_index_base_: ; @_ZN9rocsparseL23sddmm_ell_sample_kernelILi16ELi64EdidEEvT2_S1_PKT3_lS1_PS2_PKS1_21rocsparse_index_base_
; %bb.0:
	s_load_b32 s2, s[0:1], 0x18
	v_lshrrev_b32_e32 v1, 6, v0
	s_delay_alu instid0(VALU_DEP_1) | instskip(SKIP_1) | instid1(VALU_DEP_1)
	v_lshl_or_b32 v1, s15, 4, v1
	s_waitcnt lgkmcnt(0)
	v_cmp_gt_u32_e32 vcc_lo, s2, v1
	s_and_saveexec_b32 s2, vcc_lo
	s_cbranch_execz .LBB13_6
; %bb.1:
	s_load_b64 s[2:3], s[0:1], 0x0
	v_and_b32_e32 v4, 63, v0
	s_waitcnt lgkmcnt(0)
	s_delay_alu instid0(VALU_DEP_1)
	v_cmp_gt_i32_e32 vcc_lo, s2, v4
	s_and_b32 exec_lo, exec_lo, vcc_lo
	s_cbranch_execz .LBB13_6
; %bb.2:
	s_clause 0x2
	s_load_b128 s[8:11], s[0:1], 0x8
	s_load_b128 s[4:7], s[0:1], 0x20
	s_load_b32 s1, s[0:1], 0x30
	v_and_b32_e32 v0, 63, v0
	v_mul_lo_u32 v5, v1, s2
	s_delay_alu instid0(VALU_DEP_2) | instskip(SKIP_1) | instid1(VALU_DEP_1)
	v_dual_mov_b32 v1, 0 :: v_dual_lshlrev_b32 v0, 3, v0
	s_waitcnt lgkmcnt(0)
	v_add_co_u32 v2, s0, s8, v0
	s_delay_alu instid0(VALU_DEP_1)
	v_add_co_ci_u32_e64 v3, null, s9, 0, s0
	s_lshl_b64 s[8:9], s[10:11], 3
	s_mov_b32 s10, 0
	s_set_inst_prefetch_distance 0x1
	s_branch .LBB13_4
	.p2align	6
.LBB13_3:                               ;   in Loop: Header=BB13_4 Depth=1
	s_or_b32 exec_lo, exec_lo, s0
	v_add_nc_u32_e32 v4, 64, v4
	v_add_co_u32 v2, s0, 0x200, v2
	s_delay_alu instid0(VALU_DEP_1) | instskip(NEXT) | instid1(VALU_DEP_3)
	v_add_co_ci_u32_e64 v3, s0, 0, v3, s0
	v_cmp_le_i32_e32 vcc_lo, s2, v4
	s_or_b32 s10, vcc_lo, s10
	s_delay_alu instid0(SALU_CYCLE_1)
	s_and_not1_b32 exec_lo, exec_lo, s10
	s_cbranch_execz .LBB13_6
.LBB13_4:                               ; =>This Inner Loop Header: Depth=1
	v_add_nc_u32_e32 v0, v5, v4
	s_delay_alu instid0(VALU_DEP_1) | instskip(NEXT) | instid1(VALU_DEP_1)
	v_lshlrev_b64 v[6:7], 2, v[0:1]
	v_add_co_u32 v6, vcc_lo, s6, v6
	s_delay_alu instid0(VALU_DEP_2) | instskip(SKIP_3) | instid1(VALU_DEP_1)
	v_add_co_ci_u32_e32 v7, vcc_lo, s7, v7, vcc_lo
	global_load_b32 v6, v[6:7], off
	s_waitcnt vmcnt(0)
	v_subrev_nc_u32_e32 v6, s1, v6
	v_cmp_lt_i32_e32 vcc_lo, -1, v6
	v_cmp_gt_i32_e64 s0, s3, v6
	s_delay_alu instid0(VALU_DEP_1) | instskip(NEXT) | instid1(SALU_CYCLE_1)
	s_and_b32 s11, vcc_lo, s0
	s_and_saveexec_b32 s0, s11
	s_cbranch_execz .LBB13_3
; %bb.5:                                ;   in Loop: Header=BB13_4 Depth=1
	v_mad_u64_u32 v[7:8], null, s8, v6, v[2:3]
	s_delay_alu instid0(VALU_DEP_1) | instskip(NEXT) | instid1(VALU_DEP_1)
	v_mad_u64_u32 v[9:10], null, s9, v6, v[8:9]
	v_mov_b32_e32 v8, v9
	global_load_b64 v[6:7], v[7:8], off
	v_lshlrev_b64 v[8:9], 3, v[0:1]
	s_delay_alu instid0(VALU_DEP_1) | instskip(NEXT) | instid1(VALU_DEP_2)
	v_add_co_u32 v8, vcc_lo, s4, v8
	v_add_co_ci_u32_e32 v9, vcc_lo, s5, v9, vcc_lo
	s_waitcnt vmcnt(0)
	global_store_b64 v[8:9], v[6:7], off
	s_branch .LBB13_3
.LBB13_6:
	s_set_inst_prefetch_distance 0x2
	s_nop 0
	s_sendmsg sendmsg(MSG_DEALLOC_VGPRS)
	s_endpgm
	.section	.rodata,"a",@progbits
	.p2align	6, 0x0
	.amdhsa_kernel _ZN9rocsparseL23sddmm_ell_sample_kernelILi16ELi64EdidEEvT2_S1_PKT3_lS1_PS2_PKS1_21rocsparse_index_base_
		.amdhsa_group_segment_fixed_size 0
		.amdhsa_private_segment_fixed_size 0
		.amdhsa_kernarg_size 52
		.amdhsa_user_sgpr_count 15
		.amdhsa_user_sgpr_dispatch_ptr 0
		.amdhsa_user_sgpr_queue_ptr 0
		.amdhsa_user_sgpr_kernarg_segment_ptr 1
		.amdhsa_user_sgpr_dispatch_id 0
		.amdhsa_user_sgpr_private_segment_size 0
		.amdhsa_wavefront_size32 1
		.amdhsa_uses_dynamic_stack 0
		.amdhsa_enable_private_segment 0
		.amdhsa_system_sgpr_workgroup_id_x 1
		.amdhsa_system_sgpr_workgroup_id_y 0
		.amdhsa_system_sgpr_workgroup_id_z 0
		.amdhsa_system_sgpr_workgroup_info 0
		.amdhsa_system_vgpr_workitem_id 0
		.amdhsa_next_free_vgpr 11
		.amdhsa_next_free_sgpr 16
		.amdhsa_reserve_vcc 1
		.amdhsa_float_round_mode_32 0
		.amdhsa_float_round_mode_16_64 0
		.amdhsa_float_denorm_mode_32 3
		.amdhsa_float_denorm_mode_16_64 3
		.amdhsa_dx10_clamp 1
		.amdhsa_ieee_mode 1
		.amdhsa_fp16_overflow 0
		.amdhsa_workgroup_processor_mode 1
		.amdhsa_memory_ordered 1
		.amdhsa_forward_progress 0
		.amdhsa_shared_vgpr_count 0
		.amdhsa_exception_fp_ieee_invalid_op 0
		.amdhsa_exception_fp_denorm_src 0
		.amdhsa_exception_fp_ieee_div_zero 0
		.amdhsa_exception_fp_ieee_overflow 0
		.amdhsa_exception_fp_ieee_underflow 0
		.amdhsa_exception_fp_ieee_inexact 0
		.amdhsa_exception_int_div_zero 0
	.end_amdhsa_kernel
	.section	.text._ZN9rocsparseL23sddmm_ell_sample_kernelILi16ELi64EdidEEvT2_S1_PKT3_lS1_PS2_PKS1_21rocsparse_index_base_,"axG",@progbits,_ZN9rocsparseL23sddmm_ell_sample_kernelILi16ELi64EdidEEvT2_S1_PKT3_lS1_PS2_PKS1_21rocsparse_index_base_,comdat
.Lfunc_end13:
	.size	_ZN9rocsparseL23sddmm_ell_sample_kernelILi16ELi64EdidEEvT2_S1_PKT3_lS1_PS2_PKS1_21rocsparse_index_base_, .Lfunc_end13-_ZN9rocsparseL23sddmm_ell_sample_kernelILi16ELi64EdidEEvT2_S1_PKT3_lS1_PS2_PKS1_21rocsparse_index_base_
                                        ; -- End function
	.section	.AMDGPU.csdata,"",@progbits
; Kernel info:
; codeLenInByte = 380
; NumSgprs: 18
; NumVgprs: 11
; ScratchSize: 0
; MemoryBound: 0
; FloatMode: 240
; IeeeMode: 1
; LDSByteSize: 0 bytes/workgroup (compile time only)
; SGPRBlocks: 2
; VGPRBlocks: 1
; NumSGPRsForWavesPerEU: 18
; NumVGPRsForWavesPerEU: 11
; Occupancy: 16
; WaveLimiterHint : 1
; COMPUTE_PGM_RSRC2:SCRATCH_EN: 0
; COMPUTE_PGM_RSRC2:USER_SGPR: 15
; COMPUTE_PGM_RSRC2:TRAP_HANDLER: 0
; COMPUTE_PGM_RSRC2:TGID_X_EN: 1
; COMPUTE_PGM_RSRC2:TGID_Y_EN: 0
; COMPUTE_PGM_RSRC2:TGID_Z_EN: 0
; COMPUTE_PGM_RSRC2:TIDIG_COMP_CNT: 0
	.section	.text._ZN9rocsparseL16sddmm_ell_kernelILi512ELi8EdiidddEEv20rocsparse_operation_S1_16rocsparse_order_S2_T3_S3_S3_T2_NS_24const_host_device_scalarIT1_EEPKT4_lPKT5_lS7_PT6_PKS3_21rocsparse_index_base_b,"axG",@progbits,_ZN9rocsparseL16sddmm_ell_kernelILi512ELi8EdiidddEEv20rocsparse_operation_S1_16rocsparse_order_S2_T3_S3_S3_T2_NS_24const_host_device_scalarIT1_EEPKT4_lPKT5_lS7_PT6_PKS3_21rocsparse_index_base_b,comdat
	.globl	_ZN9rocsparseL16sddmm_ell_kernelILi512ELi8EdiidddEEv20rocsparse_operation_S1_16rocsparse_order_S2_T3_S3_S3_T2_NS_24const_host_device_scalarIT1_EEPKT4_lPKT5_lS7_PT6_PKS3_21rocsparse_index_base_b ; -- Begin function _ZN9rocsparseL16sddmm_ell_kernelILi512ELi8EdiidddEEv20rocsparse_operation_S1_16rocsparse_order_S2_T3_S3_S3_T2_NS_24const_host_device_scalarIT1_EEPKT4_lPKT5_lS7_PT6_PKS3_21rocsparse_index_base_b
	.p2align	8
	.type	_ZN9rocsparseL16sddmm_ell_kernelILi512ELi8EdiidddEEv20rocsparse_operation_S1_16rocsparse_order_S2_T3_S3_S3_T2_NS_24const_host_device_scalarIT1_EEPKT4_lPKT5_lS7_PT6_PKS3_21rocsparse_index_base_b,@function
_ZN9rocsparseL16sddmm_ell_kernelILi512ELi8EdiidddEEv20rocsparse_operation_S1_16rocsparse_order_S2_T3_S3_S3_T2_NS_24const_host_device_scalarIT1_EEPKT4_lPKT5_lS7_PT6_PKS3_21rocsparse_index_base_b: ; @_ZN9rocsparseL16sddmm_ell_kernelILi512ELi8EdiidddEEv20rocsparse_operation_S1_16rocsparse_order_S2_T3_S3_S3_T2_NS_24const_host_device_scalarIT1_EEPKT4_lPKT5_lS7_PT6_PKS3_21rocsparse_index_base_b
; %bb.0:
	s_clause 0x2
	s_load_b64 s[8:9], s[0:1], 0x60
	s_load_b64 s[2:3], s[0:1], 0x20
	s_load_b128 s[4:7], s[0:1], 0x40
	s_waitcnt lgkmcnt(0)
	s_bitcmp1_b32 s9, 0
	v_dual_mov_b32 v1, s2 :: v_dual_mov_b32 v2, s3
	s_cselect_b32 s9, -1, 0
	s_delay_alu instid0(SALU_CYCLE_1)
	s_and_b32 vcc_lo, exec_lo, s9
	s_xor_b32 s9, s9, -1
	s_cbranch_vccnz .LBB14_2
; %bb.1:
	v_dual_mov_b32 v1, s2 :: v_dual_mov_b32 v2, s3
	flat_load_b64 v[1:2], v[1:2]
.LBB14_2:
	v_dual_mov_b32 v3, s6 :: v_dual_mov_b32 v4, s7
	s_and_not1_b32 vcc_lo, exec_lo, s9
	s_cbranch_vccnz .LBB14_4
; %bb.3:
	v_dual_mov_b32 v3, s6 :: v_dual_mov_b32 v4, s7
	flat_load_b64 v[3:4], v[3:4]
.LBB14_4:
	s_waitcnt vmcnt(0) lgkmcnt(0)
	v_cmp_neq_f64_e32 vcc_lo, 0, v[1:2]
	v_cmp_neq_f64_e64 s2, 1.0, v[3:4]
	s_delay_alu instid0(VALU_DEP_1) | instskip(NEXT) | instid1(SALU_CYCLE_1)
	s_or_b32 s2, vcc_lo, s2
	s_and_saveexec_b32 s3, s2
	s_cbranch_execz .LBB14_35
; %bb.5:
	s_load_b64 s[2:3], s[0:1], 0x18
	v_lshrrev_b32_e32 v13, 3, v0
	s_delay_alu instid0(VALU_DEP_1) | instskip(SKIP_1) | instid1(VALU_DEP_1)
	v_lshl_or_b32 v5, s15, 6, v13
	s_waitcnt lgkmcnt(0)
	v_cmp_gt_i32_e32 vcc_lo, s3, v5
	s_and_b32 exec_lo, exec_lo, vcc_lo
	s_cbranch_execz .LBB14_35
; %bb.6:
	s_load_b64 s[6:7], s[0:1], 0x58
	v_ashrrev_i32_e32 v6, 31, v5
	s_delay_alu instid0(VALU_DEP_1) | instskip(SKIP_1) | instid1(VALU_DEP_1)
	v_lshlrev_b64 v[7:8], 2, v[5:6]
	s_waitcnt lgkmcnt(0)
	v_add_co_u32 v7, vcc_lo, s6, v7
	s_delay_alu instid0(VALU_DEP_2) | instskip(SKIP_4) | instid1(VALU_DEP_1)
	v_add_co_ci_u32_e32 v8, vcc_lo, s7, v8, vcc_lo
	s_mov_b32 s7, -1
	global_load_b32 v7, v[7:8], off
	s_waitcnt vmcnt(0)
	v_subrev_nc_u32_e32 v7, s8, v7
	v_cmp_lt_i32_e32 vcc_lo, -1, v7
	s_and_b32 exec_lo, exec_lo, vcc_lo
	s_cbranch_execz .LBB14_35
; %bb.7:
	s_clause 0x1
	s_load_b128 s[8:11], s[0:1], 0x0
	s_load_b32 s12, s[0:1], 0x10
	v_sub_nc_u32_e32 v10, 0, v5
	s_waitcnt lgkmcnt(0)
	s_cmp_eq_u32 s10, 1
	s_cselect_b32 s3, -1, 0
	s_cmpk_eq_i32 s8, 0x6f
	s_cselect_b32 s14, -1, 0
	s_cmpk_lg_i32 s8, 0x6f
	s_cselect_b32 s6, -1, 0
	s_abs_i32 s8, s12
	s_delay_alu instid0(SALU_CYCLE_1) | instskip(SKIP_2) | instid1(VALU_DEP_1)
	v_cvt_f32_u32_e32 v8, s8
	s_sub_i32 s12, 0, s8
	s_cmp_lg_u32 s10, 1
	v_rcp_iflag_f32_e32 v8, v8
	s_waitcnt_depctr 0xfff
	v_mul_f32_e32 v8, 0x4f7ffffe, v8
	s_delay_alu instid0(VALU_DEP_1) | instskip(NEXT) | instid1(VALU_DEP_1)
	v_cvt_u32_f32_e32 v8, v8
	v_mul_lo_u32 v9, s12, v8
	s_load_b64 s[12:13], s[0:1], 0x30
	s_delay_alu instid0(VALU_DEP_1) | instskip(NEXT) | instid1(VALU_DEP_1)
	v_mul_hi_u32 v9, v8, v9
	v_add_nc_u32_e32 v8, v8, v9
	v_max_i32_e32 v9, v5, v10
	s_delay_alu instid0(VALU_DEP_1) | instskip(NEXT) | instid1(VALU_DEP_1)
	v_mul_hi_u32 v8, v9, v8
	v_mul_lo_u32 v8, v8, s8
	s_delay_alu instid0(VALU_DEP_1) | instskip(NEXT) | instid1(VALU_DEP_1)
	v_sub_nc_u32_e32 v8, v9, v8
	v_subrev_nc_u32_e32 v9, s8, v8
	v_cmp_le_u32_e32 vcc_lo, s8, v8
	s_delay_alu instid0(VALU_DEP_2) | instskip(NEXT) | instid1(VALU_DEP_1)
	v_cndmask_b32_e32 v8, v8, v9, vcc_lo
	v_subrev_nc_u32_e32 v9, s8, v8
	v_cmp_le_u32_e32 vcc_lo, s8, v8
	s_delay_alu instid0(VALU_DEP_2) | instskip(NEXT) | instid1(VALU_DEP_1)
	v_cndmask_b32_e32 v8, v8, v9, vcc_lo
	v_xor_b32_e32 v8, v8, v6
	s_delay_alu instid0(VALU_DEP_1) | instskip(NEXT) | instid1(VALU_DEP_1)
	v_sub_nc_u32_e32 v11, v8, v6
	v_ashrrev_i32_e32 v12, 31, v11
	s_cbranch_scc0 .LBB14_11
; %bb.8:
	s_delay_alu instid0(VALU_DEP_1)
	v_dual_mov_b32 v9, v11 :: v_dual_mov_b32 v10, v12
	s_and_not1_b32 vcc_lo, exec_lo, s14
	s_cbranch_vccnz .LBB14_10
; %bb.9:
	s_waitcnt lgkmcnt(0)
	v_mul_lo_u32 v8, v12, s12
	v_mul_lo_u32 v14, v11, s13
	v_mad_u64_u32 v[9:10], null, v11, s12, 0
	s_delay_alu instid0(VALU_DEP_1)
	v_add3_u32 v10, v10, v14, v8
.LBB14_10:
	s_cbranch_execz .LBB14_12
	s_branch .LBB14_15
.LBB14_11:
                                        ; implicit-def: $vgpr9_vgpr10
	s_and_not1_b32 vcc_lo, exec_lo, s7
	s_cbranch_vccnz .LBB14_15
.LBB14_12:
	s_and_not1_b32 vcc_lo, exec_lo, s6
	s_cbranch_vccnz .LBB14_14
; %bb.13:
	s_waitcnt lgkmcnt(0)
	v_mul_lo_u32 v10, v12, s12
	v_mul_lo_u32 v12, v11, s13
	v_mad_u64_u32 v[8:9], null, v11, s12, 0
	s_delay_alu instid0(VALU_DEP_1) | instskip(NEXT) | instid1(VALU_DEP_1)
	v_add3_u32 v9, v9, v12, v10
	v_dual_mov_b32 v12, v9 :: v_dual_mov_b32 v11, v8
.LBB14_14:
	s_delay_alu instid0(VALU_DEP_1)
	v_dual_mov_b32 v9, v11 :: v_dual_mov_b32 v10, v12
.LBB14_15:
	s_cmp_eq_u32 s11, 1
	v_mov_b32_e32 v8, 0
	s_cselect_b32 s8, -1, 0
	s_cmpk_eq_i32 s9, 0x6f
	s_cselect_b32 s15, -1, 0
	s_cmpk_lg_i32 s9, 0x6f
	s_cselect_b32 s6, -1, 0
	s_cmp_lg_u32 s11, 1
	s_cbranch_scc0 .LBB14_19
; %bb.16:
	v_dual_mov_b32 v12, v8 :: v_dual_mov_b32 v11, v7
	s_and_not1_b32 vcc_lo, exec_lo, s6
	s_cbranch_vccnz .LBB14_18
; %bb.17:
	v_mad_u64_u32 v[11:12], null, v7, s4, 0
	s_delay_alu instid0(VALU_DEP_1) | instskip(NEXT) | instid1(VALU_DEP_1)
	v_mad_u64_u32 v[14:15], null, v7, s5, v[12:13]
	v_mov_b32_e32 v12, v14
.LBB14_18:
	s_cbranch_execz .LBB14_20
	s_branch .LBB14_23
.LBB14_19:
                                        ; implicit-def: $vgpr11_vgpr12
.LBB14_20:
	s_and_not1_b32 vcc_lo, exec_lo, s15
	s_cbranch_vccnz .LBB14_22
; %bb.21:
	v_mad_u64_u32 v[11:12], null, v7, s4, 0
	s_delay_alu instid0(VALU_DEP_1) | instskip(NEXT) | instid1(VALU_DEP_1)
	v_mov_b32_e32 v8, v12
	v_mad_u64_u32 v[14:15], null, v7, s5, v[8:9]
	s_delay_alu instid0(VALU_DEP_1) | instskip(NEXT) | instid1(VALU_DEP_1)
	v_mov_b32_e32 v12, v14
	v_dual_mov_b32 v7, v11 :: v_dual_mov_b32 v8, v12
.LBB14_22:
	s_delay_alu instid0(VALU_DEP_1)
	v_dual_mov_b32 v12, v8 :: v_dual_mov_b32 v11, v7
.LBB14_23:
	s_load_b64 s[6:7], s[0:1], 0x50
	v_dual_mov_b32 v7, 0 :: v_dual_and_b32 v14, 7, v0
	v_mov_b32_e32 v8, 0
	s_mov_b32 s10, exec_lo
	s_delay_alu instid0(VALU_DEP_2)
	v_cmpx_gt_i32_e64 s2, v14
	s_cbranch_execz .LBB14_27
; %bb.24:
	s_xor_b32 s3, s14, s3
	v_and_b32_e32 v19, 7, v0
	s_and_b32 s3, s3, exec_lo
	s_waitcnt lgkmcnt(0)
	s_cselect_b32 s12, 1, s12
	s_cselect_b32 s13, 0, s13
	s_xor_b32 s3, s15, s8
	v_mad_u64_u32 v[7:8], null, s12, v19, 0
	s_and_b32 s3, s3, exec_lo
	s_cselect_b32 s8, s4, 1
	s_cselect_b32 s9, s5, 0
	s_clause 0x1
	s_load_b64 s[4:5], s[0:1], 0x28
	s_load_b64 s[0:1], s[0:1], 0x38
	v_lshlrev_b64 v[11:12], 3, v[11:12]
	v_mov_b32_e32 v0, v8
	v_mad_u64_u32 v[15:16], null, s8, v19, 0
	s_delay_alu instid0(VALU_DEP_1) | instskip(NEXT) | instid1(VALU_DEP_3)
	v_mov_b32_e32 v8, v16
	v_mad_u64_u32 v[16:17], null, s13, v19, v[0:1]
	s_delay_alu instid0(VALU_DEP_2) | instskip(SKIP_2) | instid1(VALU_DEP_3)
	v_mad_u64_u32 v[17:18], null, s9, v19, v[8:9]
	v_lshlrev_b64 v[9:10], 3, v[9:10]
	s_lshl_b64 s[8:9], s[8:9], 6
	v_mov_b32_e32 v8, v16
	s_delay_alu instid0(VALU_DEP_3) | instskip(NEXT) | instid1(VALU_DEP_2)
	v_mov_b32_e32 v16, v17
	v_lshlrev_b64 v[17:18], 3, v[7:8]
	v_mov_b32_e32 v7, 0
	v_mov_b32_e32 v8, 0
	s_delay_alu instid0(VALU_DEP_4) | instskip(NEXT) | instid1(VALU_DEP_4)
	v_lshlrev_b64 v[15:16], 3, v[15:16]
	v_add_co_u32 v0, vcc_lo, v17, v9
	v_add_co_ci_u32_e32 v10, vcc_lo, v18, v10, vcc_lo
	s_delay_alu instid0(VALU_DEP_3) | instskip(NEXT) | instid1(VALU_DEP_4)
	v_add_co_u32 v11, vcc_lo, v15, v11
	v_add_co_ci_u32_e32 v12, vcc_lo, v16, v12, vcc_lo
	s_waitcnt lgkmcnt(0)
	v_add_co_u32 v9, vcc_lo, s4, v0
	v_add_co_ci_u32_e32 v10, vcc_lo, s5, v10, vcc_lo
	v_add_co_u32 v11, vcc_lo, s0, v11
	v_add_co_ci_u32_e32 v12, vcc_lo, s1, v12, vcc_lo
	v_mov_b32_e32 v0, v14
	s_mov_b32 s1, 0
	s_lshl_b64 s[4:5], s[12:13], 6
	.p2align	6
.LBB14_25:                              ; =>This Inner Loop Header: Depth=1
	global_load_b64 v[15:16], v[9:10], off
	global_load_b64 v[17:18], v[11:12], off
	v_add_nc_u32_e32 v0, 8, v0
	v_add_co_u32 v9, vcc_lo, v9, s4
	v_add_co_ci_u32_e32 v10, vcc_lo, s5, v10, vcc_lo
	s_delay_alu instid0(VALU_DEP_3) | instskip(SKIP_1) | instid1(VALU_DEP_1)
	v_cmp_le_i32_e32 vcc_lo, s2, v0
	v_add_co_u32 v11, s0, v11, s8
	v_add_co_ci_u32_e64 v12, s0, s9, v12, s0
	s_or_b32 s1, vcc_lo, s1
	s_waitcnt vmcnt(0)
	v_fma_f64 v[7:8], v[15:16], v[17:18], v[7:8]
	s_and_not1_b32 exec_lo, exec_lo, s1
	s_cbranch_execnz .LBB14_25
; %bb.26:
	s_or_b32 exec_lo, exec_lo, s1
.LBB14_27:
	s_delay_alu instid0(SALU_CYCLE_1) | instskip(SKIP_2) | instid1(VALU_DEP_1)
	s_or_b32 exec_lo, exec_lo, s10
	v_lshlrev_b32_e32 v0, 3, v14
	s_mov_b32 s0, exec_lo
	v_lshl_or_b32 v0, v13, 6, v0
	ds_store_b64 v0, v[7:8]
	s_waitcnt lgkmcnt(0)
	s_barrier
	buffer_gl0_inv
	v_cmpx_gt_u32_e32 4, v14
	s_cbranch_execz .LBB14_29
; %bb.28:
	ds_load_2addr_b64 v[7:10], v0 offset1:4
	s_waitcnt lgkmcnt(0)
	v_add_f64 v[7:8], v[9:10], v[7:8]
	ds_store_b64 v0, v[7:8]
.LBB14_29:
	s_or_b32 exec_lo, exec_lo, s0
	s_delay_alu instid0(SALU_CYCLE_1)
	s_mov_b32 s0, exec_lo
	s_waitcnt lgkmcnt(0)
	s_barrier
	buffer_gl0_inv
	v_cmpx_gt_u32_e32 2, v14
	s_cbranch_execz .LBB14_31
; %bb.30:
	ds_load_2addr_b64 v[7:10], v0 offset1:2
	s_waitcnt lgkmcnt(0)
	v_add_f64 v[7:8], v[9:10], v[7:8]
	ds_store_b64 v0, v[7:8]
.LBB14_31:
	s_or_b32 exec_lo, exec_lo, s0
	v_cmp_eq_u32_e32 vcc_lo, 0, v14
	v_lshlrev_b32_e32 v7, 6, v13
	s_waitcnt lgkmcnt(0)
	s_barrier
	buffer_gl0_inv
	s_and_saveexec_b32 s0, vcc_lo
	s_cbranch_execz .LBB14_33
; %bb.32:
	ds_load_b64 v[8:9], v7 offset:8
	ds_load_b64 v[10:11], v0
	s_waitcnt lgkmcnt(0)
	v_add_f64 v[8:9], v[8:9], v[10:11]
	ds_store_b64 v0, v[8:9]
.LBB14_33:
	s_or_b32 exec_lo, exec_lo, s0
	s_waitcnt lgkmcnt(0)
	s_barrier
	buffer_gl0_inv
	s_and_b32 exec_lo, exec_lo, vcc_lo
	s_cbranch_execz .LBB14_35
; %bb.34:
	v_lshlrev_b64 v[5:6], 3, v[5:6]
	ds_load_b64 v[10:11], v7
	v_add_co_u32 v5, vcc_lo, s6, v5
	v_add_co_ci_u32_e32 v6, vcc_lo, s7, v6, vcc_lo
	global_load_b64 v[8:9], v[5:6], off
	s_waitcnt lgkmcnt(0)
	v_mul_f64 v[0:1], v[1:2], v[10:11]
	s_waitcnt vmcnt(0)
	s_delay_alu instid0(VALU_DEP_1)
	v_fma_f64 v[0:1], v[3:4], v[8:9], v[0:1]
	global_store_b64 v[5:6], v[0:1], off
.LBB14_35:
	s_nop 0
	s_sendmsg sendmsg(MSG_DEALLOC_VGPRS)
	s_endpgm
	.section	.rodata,"a",@progbits
	.p2align	6, 0x0
	.amdhsa_kernel _ZN9rocsparseL16sddmm_ell_kernelILi512ELi8EdiidddEEv20rocsparse_operation_S1_16rocsparse_order_S2_T3_S3_S3_T2_NS_24const_host_device_scalarIT1_EEPKT4_lPKT5_lS7_PT6_PKS3_21rocsparse_index_base_b
		.amdhsa_group_segment_fixed_size 4096
		.amdhsa_private_segment_fixed_size 0
		.amdhsa_kernarg_size 104
		.amdhsa_user_sgpr_count 15
		.amdhsa_user_sgpr_dispatch_ptr 0
		.amdhsa_user_sgpr_queue_ptr 0
		.amdhsa_user_sgpr_kernarg_segment_ptr 1
		.amdhsa_user_sgpr_dispatch_id 0
		.amdhsa_user_sgpr_private_segment_size 0
		.amdhsa_wavefront_size32 1
		.amdhsa_uses_dynamic_stack 0
		.amdhsa_enable_private_segment 0
		.amdhsa_system_sgpr_workgroup_id_x 1
		.amdhsa_system_sgpr_workgroup_id_y 0
		.amdhsa_system_sgpr_workgroup_id_z 0
		.amdhsa_system_sgpr_workgroup_info 0
		.amdhsa_system_vgpr_workitem_id 0
		.amdhsa_next_free_vgpr 20
		.amdhsa_next_free_sgpr 16
		.amdhsa_reserve_vcc 1
		.amdhsa_float_round_mode_32 0
		.amdhsa_float_round_mode_16_64 0
		.amdhsa_float_denorm_mode_32 3
		.amdhsa_float_denorm_mode_16_64 3
		.amdhsa_dx10_clamp 1
		.amdhsa_ieee_mode 1
		.amdhsa_fp16_overflow 0
		.amdhsa_workgroup_processor_mode 1
		.amdhsa_memory_ordered 1
		.amdhsa_forward_progress 0
		.amdhsa_shared_vgpr_count 0
		.amdhsa_exception_fp_ieee_invalid_op 0
		.amdhsa_exception_fp_denorm_src 0
		.amdhsa_exception_fp_ieee_div_zero 0
		.amdhsa_exception_fp_ieee_overflow 0
		.amdhsa_exception_fp_ieee_underflow 0
		.amdhsa_exception_fp_ieee_inexact 0
		.amdhsa_exception_int_div_zero 0
	.end_amdhsa_kernel
	.section	.text._ZN9rocsparseL16sddmm_ell_kernelILi512ELi8EdiidddEEv20rocsparse_operation_S1_16rocsparse_order_S2_T3_S3_S3_T2_NS_24const_host_device_scalarIT1_EEPKT4_lPKT5_lS7_PT6_PKS3_21rocsparse_index_base_b,"axG",@progbits,_ZN9rocsparseL16sddmm_ell_kernelILi512ELi8EdiidddEEv20rocsparse_operation_S1_16rocsparse_order_S2_T3_S3_S3_T2_NS_24const_host_device_scalarIT1_EEPKT4_lPKT5_lS7_PT6_PKS3_21rocsparse_index_base_b,comdat
.Lfunc_end14:
	.size	_ZN9rocsparseL16sddmm_ell_kernelILi512ELi8EdiidddEEv20rocsparse_operation_S1_16rocsparse_order_S2_T3_S3_S3_T2_NS_24const_host_device_scalarIT1_EEPKT4_lPKT5_lS7_PT6_PKS3_21rocsparse_index_base_b, .Lfunc_end14-_ZN9rocsparseL16sddmm_ell_kernelILi512ELi8EdiidddEEv20rocsparse_operation_S1_16rocsparse_order_S2_T3_S3_S3_T2_NS_24const_host_device_scalarIT1_EEPKT4_lPKT5_lS7_PT6_PKS3_21rocsparse_index_base_b
                                        ; -- End function
	.section	.AMDGPU.csdata,"",@progbits
; Kernel info:
; codeLenInByte = 1452
; NumSgprs: 18
; NumVgprs: 20
; ScratchSize: 0
; MemoryBound: 0
; FloatMode: 240
; IeeeMode: 1
; LDSByteSize: 4096 bytes/workgroup (compile time only)
; SGPRBlocks: 2
; VGPRBlocks: 2
; NumSGPRsForWavesPerEU: 18
; NumVGPRsForWavesPerEU: 20
; Occupancy: 16
; WaveLimiterHint : 0
; COMPUTE_PGM_RSRC2:SCRATCH_EN: 0
; COMPUTE_PGM_RSRC2:USER_SGPR: 15
; COMPUTE_PGM_RSRC2:TRAP_HANDLER: 0
; COMPUTE_PGM_RSRC2:TGID_X_EN: 1
; COMPUTE_PGM_RSRC2:TGID_Y_EN: 0
; COMPUTE_PGM_RSRC2:TGID_Z_EN: 0
; COMPUTE_PGM_RSRC2:TIDIG_COMP_CNT: 0
	.section	.text._ZN9rocsparseL16sddmm_ell_kernelILi512ELi4EdiidddEEv20rocsparse_operation_S1_16rocsparse_order_S2_T3_S3_S3_T2_NS_24const_host_device_scalarIT1_EEPKT4_lPKT5_lS7_PT6_PKS3_21rocsparse_index_base_b,"axG",@progbits,_ZN9rocsparseL16sddmm_ell_kernelILi512ELi4EdiidddEEv20rocsparse_operation_S1_16rocsparse_order_S2_T3_S3_S3_T2_NS_24const_host_device_scalarIT1_EEPKT4_lPKT5_lS7_PT6_PKS3_21rocsparse_index_base_b,comdat
	.globl	_ZN9rocsparseL16sddmm_ell_kernelILi512ELi4EdiidddEEv20rocsparse_operation_S1_16rocsparse_order_S2_T3_S3_S3_T2_NS_24const_host_device_scalarIT1_EEPKT4_lPKT5_lS7_PT6_PKS3_21rocsparse_index_base_b ; -- Begin function _ZN9rocsparseL16sddmm_ell_kernelILi512ELi4EdiidddEEv20rocsparse_operation_S1_16rocsparse_order_S2_T3_S3_S3_T2_NS_24const_host_device_scalarIT1_EEPKT4_lPKT5_lS7_PT6_PKS3_21rocsparse_index_base_b
	.p2align	8
	.type	_ZN9rocsparseL16sddmm_ell_kernelILi512ELi4EdiidddEEv20rocsparse_operation_S1_16rocsparse_order_S2_T3_S3_S3_T2_NS_24const_host_device_scalarIT1_EEPKT4_lPKT5_lS7_PT6_PKS3_21rocsparse_index_base_b,@function
_ZN9rocsparseL16sddmm_ell_kernelILi512ELi4EdiidddEEv20rocsparse_operation_S1_16rocsparse_order_S2_T3_S3_S3_T2_NS_24const_host_device_scalarIT1_EEPKT4_lPKT5_lS7_PT6_PKS3_21rocsparse_index_base_b: ; @_ZN9rocsparseL16sddmm_ell_kernelILi512ELi4EdiidddEEv20rocsparse_operation_S1_16rocsparse_order_S2_T3_S3_S3_T2_NS_24const_host_device_scalarIT1_EEPKT4_lPKT5_lS7_PT6_PKS3_21rocsparse_index_base_b
; %bb.0:
	s_clause 0x2
	s_load_b64 s[8:9], s[0:1], 0x60
	s_load_b64 s[2:3], s[0:1], 0x20
	s_load_b128 s[4:7], s[0:1], 0x40
	s_waitcnt lgkmcnt(0)
	s_bitcmp1_b32 s9, 0
	v_dual_mov_b32 v1, s2 :: v_dual_mov_b32 v2, s3
	s_cselect_b32 s9, -1, 0
	s_delay_alu instid0(SALU_CYCLE_1)
	s_and_b32 vcc_lo, exec_lo, s9
	s_xor_b32 s9, s9, -1
	s_cbranch_vccnz .LBB15_2
; %bb.1:
	v_dual_mov_b32 v1, s2 :: v_dual_mov_b32 v2, s3
	flat_load_b64 v[1:2], v[1:2]
.LBB15_2:
	v_dual_mov_b32 v3, s6 :: v_dual_mov_b32 v4, s7
	s_and_not1_b32 vcc_lo, exec_lo, s9
	s_cbranch_vccnz .LBB15_4
; %bb.3:
	v_dual_mov_b32 v3, s6 :: v_dual_mov_b32 v4, s7
	flat_load_b64 v[3:4], v[3:4]
.LBB15_4:
	s_waitcnt vmcnt(0) lgkmcnt(0)
	v_cmp_neq_f64_e32 vcc_lo, 0, v[1:2]
	v_cmp_neq_f64_e64 s2, 1.0, v[3:4]
	s_delay_alu instid0(VALU_DEP_1) | instskip(NEXT) | instid1(SALU_CYCLE_1)
	s_or_b32 s2, vcc_lo, s2
	s_and_saveexec_b32 s3, s2
	s_cbranch_execz .LBB15_33
; %bb.5:
	s_load_b64 s[2:3], s[0:1], 0x18
	v_lshrrev_b32_e32 v13, 2, v0
	s_delay_alu instid0(VALU_DEP_1) | instskip(SKIP_1) | instid1(VALU_DEP_1)
	v_lshl_or_b32 v5, s15, 7, v13
	s_waitcnt lgkmcnt(0)
	v_cmp_gt_i32_e32 vcc_lo, s3, v5
	s_and_b32 exec_lo, exec_lo, vcc_lo
	s_cbranch_execz .LBB15_33
; %bb.6:
	s_load_b64 s[6:7], s[0:1], 0x58
	v_ashrrev_i32_e32 v6, 31, v5
	s_delay_alu instid0(VALU_DEP_1) | instskip(SKIP_1) | instid1(VALU_DEP_1)
	v_lshlrev_b64 v[7:8], 2, v[5:6]
	s_waitcnt lgkmcnt(0)
	v_add_co_u32 v7, vcc_lo, s6, v7
	s_delay_alu instid0(VALU_DEP_2) | instskip(SKIP_4) | instid1(VALU_DEP_1)
	v_add_co_ci_u32_e32 v8, vcc_lo, s7, v8, vcc_lo
	s_mov_b32 s7, -1
	global_load_b32 v7, v[7:8], off
	s_waitcnt vmcnt(0)
	v_subrev_nc_u32_e32 v7, s8, v7
	v_cmp_lt_i32_e32 vcc_lo, -1, v7
	s_and_b32 exec_lo, exec_lo, vcc_lo
	s_cbranch_execz .LBB15_33
; %bb.7:
	s_clause 0x1
	s_load_b128 s[8:11], s[0:1], 0x0
	s_load_b32 s12, s[0:1], 0x10
	v_sub_nc_u32_e32 v10, 0, v5
	s_waitcnt lgkmcnt(0)
	s_cmp_eq_u32 s10, 1
	s_cselect_b32 s3, -1, 0
	s_cmpk_eq_i32 s8, 0x6f
	s_cselect_b32 s14, -1, 0
	s_cmpk_lg_i32 s8, 0x6f
	s_cselect_b32 s6, -1, 0
	s_abs_i32 s8, s12
	s_delay_alu instid0(SALU_CYCLE_1) | instskip(SKIP_2) | instid1(VALU_DEP_1)
	v_cvt_f32_u32_e32 v8, s8
	s_sub_i32 s12, 0, s8
	s_cmp_lg_u32 s10, 1
	v_rcp_iflag_f32_e32 v8, v8
	s_waitcnt_depctr 0xfff
	v_mul_f32_e32 v8, 0x4f7ffffe, v8
	s_delay_alu instid0(VALU_DEP_1) | instskip(NEXT) | instid1(VALU_DEP_1)
	v_cvt_u32_f32_e32 v8, v8
	v_mul_lo_u32 v9, s12, v8
	s_load_b64 s[12:13], s[0:1], 0x30
	s_delay_alu instid0(VALU_DEP_1) | instskip(NEXT) | instid1(VALU_DEP_1)
	v_mul_hi_u32 v9, v8, v9
	v_add_nc_u32_e32 v8, v8, v9
	v_max_i32_e32 v9, v5, v10
	s_delay_alu instid0(VALU_DEP_1) | instskip(NEXT) | instid1(VALU_DEP_1)
	v_mul_hi_u32 v8, v9, v8
	v_mul_lo_u32 v8, v8, s8
	s_delay_alu instid0(VALU_DEP_1) | instskip(NEXT) | instid1(VALU_DEP_1)
	v_sub_nc_u32_e32 v8, v9, v8
	v_subrev_nc_u32_e32 v9, s8, v8
	v_cmp_le_u32_e32 vcc_lo, s8, v8
	s_delay_alu instid0(VALU_DEP_2) | instskip(NEXT) | instid1(VALU_DEP_1)
	v_cndmask_b32_e32 v8, v8, v9, vcc_lo
	v_subrev_nc_u32_e32 v9, s8, v8
	v_cmp_le_u32_e32 vcc_lo, s8, v8
	s_delay_alu instid0(VALU_DEP_2) | instskip(NEXT) | instid1(VALU_DEP_1)
	v_cndmask_b32_e32 v8, v8, v9, vcc_lo
	v_xor_b32_e32 v8, v8, v6
	s_delay_alu instid0(VALU_DEP_1) | instskip(NEXT) | instid1(VALU_DEP_1)
	v_sub_nc_u32_e32 v11, v8, v6
	v_ashrrev_i32_e32 v12, 31, v11
	s_cbranch_scc0 .LBB15_11
; %bb.8:
	s_delay_alu instid0(VALU_DEP_1)
	v_dual_mov_b32 v9, v11 :: v_dual_mov_b32 v10, v12
	s_and_not1_b32 vcc_lo, exec_lo, s14
	s_cbranch_vccnz .LBB15_10
; %bb.9:
	s_waitcnt lgkmcnt(0)
	v_mul_lo_u32 v8, v12, s12
	v_mul_lo_u32 v14, v11, s13
	v_mad_u64_u32 v[9:10], null, v11, s12, 0
	s_delay_alu instid0(VALU_DEP_1)
	v_add3_u32 v10, v10, v14, v8
.LBB15_10:
	s_cbranch_execz .LBB15_12
	s_branch .LBB15_15
.LBB15_11:
                                        ; implicit-def: $vgpr9_vgpr10
	s_and_not1_b32 vcc_lo, exec_lo, s7
	s_cbranch_vccnz .LBB15_15
.LBB15_12:
	s_and_not1_b32 vcc_lo, exec_lo, s6
	s_cbranch_vccnz .LBB15_14
; %bb.13:
	s_waitcnt lgkmcnt(0)
	v_mul_lo_u32 v10, v12, s12
	v_mul_lo_u32 v12, v11, s13
	v_mad_u64_u32 v[8:9], null, v11, s12, 0
	s_delay_alu instid0(VALU_DEP_1) | instskip(NEXT) | instid1(VALU_DEP_1)
	v_add3_u32 v9, v9, v12, v10
	v_dual_mov_b32 v12, v9 :: v_dual_mov_b32 v11, v8
.LBB15_14:
	s_delay_alu instid0(VALU_DEP_1)
	v_dual_mov_b32 v9, v11 :: v_dual_mov_b32 v10, v12
.LBB15_15:
	s_cmp_eq_u32 s11, 1
	v_mov_b32_e32 v8, 0
	s_cselect_b32 s8, -1, 0
	s_cmpk_eq_i32 s9, 0x6f
	s_cselect_b32 s15, -1, 0
	s_cmpk_lg_i32 s9, 0x6f
	s_cselect_b32 s6, -1, 0
	s_cmp_lg_u32 s11, 1
	s_cbranch_scc0 .LBB15_19
; %bb.16:
	v_dual_mov_b32 v12, v8 :: v_dual_mov_b32 v11, v7
	s_and_not1_b32 vcc_lo, exec_lo, s6
	s_cbranch_vccnz .LBB15_18
; %bb.17:
	v_mad_u64_u32 v[11:12], null, v7, s4, 0
	s_delay_alu instid0(VALU_DEP_1) | instskip(NEXT) | instid1(VALU_DEP_1)
	v_mad_u64_u32 v[14:15], null, v7, s5, v[12:13]
	v_mov_b32_e32 v12, v14
.LBB15_18:
	s_cbranch_execz .LBB15_20
	s_branch .LBB15_23
.LBB15_19:
                                        ; implicit-def: $vgpr11_vgpr12
.LBB15_20:
	s_and_not1_b32 vcc_lo, exec_lo, s15
	s_cbranch_vccnz .LBB15_22
; %bb.21:
	v_mad_u64_u32 v[11:12], null, v7, s4, 0
	s_delay_alu instid0(VALU_DEP_1) | instskip(NEXT) | instid1(VALU_DEP_1)
	v_mov_b32_e32 v8, v12
	v_mad_u64_u32 v[14:15], null, v7, s5, v[8:9]
	s_delay_alu instid0(VALU_DEP_1) | instskip(NEXT) | instid1(VALU_DEP_1)
	v_mov_b32_e32 v12, v14
	v_dual_mov_b32 v7, v11 :: v_dual_mov_b32 v8, v12
.LBB15_22:
	s_delay_alu instid0(VALU_DEP_1)
	v_dual_mov_b32 v12, v8 :: v_dual_mov_b32 v11, v7
.LBB15_23:
	s_load_b64 s[6:7], s[0:1], 0x50
	v_dual_mov_b32 v7, 0 :: v_dual_and_b32 v14, 3, v0
	v_mov_b32_e32 v8, 0
	s_mov_b32 s10, exec_lo
	s_delay_alu instid0(VALU_DEP_2)
	v_cmpx_gt_i32_e64 s2, v14
	s_cbranch_execz .LBB15_27
; %bb.24:
	s_xor_b32 s3, s14, s3
	v_and_b32_e32 v19, 3, v0
	s_and_b32 s3, s3, exec_lo
	s_waitcnt lgkmcnt(0)
	s_cselect_b32 s12, 1, s12
	s_cselect_b32 s13, 0, s13
	s_xor_b32 s3, s15, s8
	v_mad_u64_u32 v[7:8], null, s12, v19, 0
	s_and_b32 s3, s3, exec_lo
	s_cselect_b32 s8, s4, 1
	s_cselect_b32 s9, s5, 0
	s_clause 0x1
	s_load_b64 s[4:5], s[0:1], 0x28
	s_load_b64 s[0:1], s[0:1], 0x38
	v_lshlrev_b64 v[11:12], 3, v[11:12]
	v_mov_b32_e32 v0, v8
	v_mad_u64_u32 v[15:16], null, s8, v19, 0
	s_delay_alu instid0(VALU_DEP_1) | instskip(NEXT) | instid1(VALU_DEP_3)
	v_mov_b32_e32 v8, v16
	v_mad_u64_u32 v[16:17], null, s13, v19, v[0:1]
	s_delay_alu instid0(VALU_DEP_2) | instskip(SKIP_2) | instid1(VALU_DEP_3)
	v_mad_u64_u32 v[17:18], null, s9, v19, v[8:9]
	v_lshlrev_b64 v[9:10], 3, v[9:10]
	s_lshl_b64 s[8:9], s[8:9], 5
	v_mov_b32_e32 v8, v16
	s_delay_alu instid0(VALU_DEP_3) | instskip(NEXT) | instid1(VALU_DEP_2)
	v_mov_b32_e32 v16, v17
	v_lshlrev_b64 v[17:18], 3, v[7:8]
	v_mov_b32_e32 v7, 0
	v_mov_b32_e32 v8, 0
	s_delay_alu instid0(VALU_DEP_4) | instskip(NEXT) | instid1(VALU_DEP_4)
	v_lshlrev_b64 v[15:16], 3, v[15:16]
	v_add_co_u32 v0, vcc_lo, v17, v9
	v_add_co_ci_u32_e32 v10, vcc_lo, v18, v10, vcc_lo
	s_delay_alu instid0(VALU_DEP_3) | instskip(NEXT) | instid1(VALU_DEP_4)
	v_add_co_u32 v11, vcc_lo, v15, v11
	v_add_co_ci_u32_e32 v12, vcc_lo, v16, v12, vcc_lo
	s_waitcnt lgkmcnt(0)
	v_add_co_u32 v9, vcc_lo, s4, v0
	v_add_co_ci_u32_e32 v10, vcc_lo, s5, v10, vcc_lo
	v_add_co_u32 v11, vcc_lo, s0, v11
	v_add_co_ci_u32_e32 v12, vcc_lo, s1, v12, vcc_lo
	v_mov_b32_e32 v0, v14
	s_mov_b32 s1, 0
	s_lshl_b64 s[4:5], s[12:13], 5
	.p2align	6
.LBB15_25:                              ; =>This Inner Loop Header: Depth=1
	global_load_b64 v[15:16], v[9:10], off
	global_load_b64 v[17:18], v[11:12], off
	v_add_nc_u32_e32 v0, 4, v0
	v_add_co_u32 v9, vcc_lo, v9, s4
	v_add_co_ci_u32_e32 v10, vcc_lo, s5, v10, vcc_lo
	s_delay_alu instid0(VALU_DEP_3) | instskip(SKIP_1) | instid1(VALU_DEP_1)
	v_cmp_le_i32_e32 vcc_lo, s2, v0
	v_add_co_u32 v11, s0, v11, s8
	v_add_co_ci_u32_e64 v12, s0, s9, v12, s0
	s_or_b32 s1, vcc_lo, s1
	s_waitcnt vmcnt(0)
	v_fma_f64 v[7:8], v[15:16], v[17:18], v[7:8]
	s_and_not1_b32 exec_lo, exec_lo, s1
	s_cbranch_execnz .LBB15_25
; %bb.26:
	s_or_b32 exec_lo, exec_lo, s1
.LBB15_27:
	s_delay_alu instid0(SALU_CYCLE_1) | instskip(SKIP_2) | instid1(VALU_DEP_1)
	s_or_b32 exec_lo, exec_lo, s10
	v_lshlrev_b32_e32 v0, 3, v14
	s_mov_b32 s0, exec_lo
	v_lshl_or_b32 v0, v13, 5, v0
	ds_store_b64 v0, v[7:8]
	s_waitcnt lgkmcnt(0)
	s_barrier
	buffer_gl0_inv
	v_cmpx_gt_u32_e32 2, v14
	s_cbranch_execz .LBB15_29
; %bb.28:
	ds_load_2addr_b64 v[7:10], v0 offset1:2
	s_waitcnt lgkmcnt(0)
	v_add_f64 v[7:8], v[9:10], v[7:8]
	ds_store_b64 v0, v[7:8]
.LBB15_29:
	s_or_b32 exec_lo, exec_lo, s0
	v_cmp_eq_u32_e32 vcc_lo, 0, v14
	v_lshlrev_b32_e32 v7, 5, v13
	s_waitcnt lgkmcnt(0)
	s_barrier
	buffer_gl0_inv
	s_and_saveexec_b32 s0, vcc_lo
	s_cbranch_execz .LBB15_31
; %bb.30:
	ds_load_b64 v[8:9], v7 offset:8
	ds_load_b64 v[10:11], v0
	s_waitcnt lgkmcnt(0)
	v_add_f64 v[8:9], v[8:9], v[10:11]
	ds_store_b64 v0, v[8:9]
.LBB15_31:
	s_or_b32 exec_lo, exec_lo, s0
	s_waitcnt lgkmcnt(0)
	s_barrier
	buffer_gl0_inv
	s_and_b32 exec_lo, exec_lo, vcc_lo
	s_cbranch_execz .LBB15_33
; %bb.32:
	v_lshlrev_b64 v[5:6], 3, v[5:6]
	ds_load_b64 v[10:11], v7
	v_add_co_u32 v5, vcc_lo, s6, v5
	v_add_co_ci_u32_e32 v6, vcc_lo, s7, v6, vcc_lo
	global_load_b64 v[8:9], v[5:6], off
	s_waitcnt lgkmcnt(0)
	v_mul_f64 v[0:1], v[1:2], v[10:11]
	s_waitcnt vmcnt(0)
	s_delay_alu instid0(VALU_DEP_1)
	v_fma_f64 v[0:1], v[3:4], v[8:9], v[0:1]
	global_store_b64 v[5:6], v[0:1], off
.LBB15_33:
	s_nop 0
	s_sendmsg sendmsg(MSG_DEALLOC_VGPRS)
	s_endpgm
	.section	.rodata,"a",@progbits
	.p2align	6, 0x0
	.amdhsa_kernel _ZN9rocsparseL16sddmm_ell_kernelILi512ELi4EdiidddEEv20rocsparse_operation_S1_16rocsparse_order_S2_T3_S3_S3_T2_NS_24const_host_device_scalarIT1_EEPKT4_lPKT5_lS7_PT6_PKS3_21rocsparse_index_base_b
		.amdhsa_group_segment_fixed_size 4096
		.amdhsa_private_segment_fixed_size 0
		.amdhsa_kernarg_size 104
		.amdhsa_user_sgpr_count 15
		.amdhsa_user_sgpr_dispatch_ptr 0
		.amdhsa_user_sgpr_queue_ptr 0
		.amdhsa_user_sgpr_kernarg_segment_ptr 1
		.amdhsa_user_sgpr_dispatch_id 0
		.amdhsa_user_sgpr_private_segment_size 0
		.amdhsa_wavefront_size32 1
		.amdhsa_uses_dynamic_stack 0
		.amdhsa_enable_private_segment 0
		.amdhsa_system_sgpr_workgroup_id_x 1
		.amdhsa_system_sgpr_workgroup_id_y 0
		.amdhsa_system_sgpr_workgroup_id_z 0
		.amdhsa_system_sgpr_workgroup_info 0
		.amdhsa_system_vgpr_workitem_id 0
		.amdhsa_next_free_vgpr 20
		.amdhsa_next_free_sgpr 16
		.amdhsa_reserve_vcc 1
		.amdhsa_float_round_mode_32 0
		.amdhsa_float_round_mode_16_64 0
		.amdhsa_float_denorm_mode_32 3
		.amdhsa_float_denorm_mode_16_64 3
		.amdhsa_dx10_clamp 1
		.amdhsa_ieee_mode 1
		.amdhsa_fp16_overflow 0
		.amdhsa_workgroup_processor_mode 1
		.amdhsa_memory_ordered 1
		.amdhsa_forward_progress 0
		.amdhsa_shared_vgpr_count 0
		.amdhsa_exception_fp_ieee_invalid_op 0
		.amdhsa_exception_fp_denorm_src 0
		.amdhsa_exception_fp_ieee_div_zero 0
		.amdhsa_exception_fp_ieee_overflow 0
		.amdhsa_exception_fp_ieee_underflow 0
		.amdhsa_exception_fp_ieee_inexact 0
		.amdhsa_exception_int_div_zero 0
	.end_amdhsa_kernel
	.section	.text._ZN9rocsparseL16sddmm_ell_kernelILi512ELi4EdiidddEEv20rocsparse_operation_S1_16rocsparse_order_S2_T3_S3_S3_T2_NS_24const_host_device_scalarIT1_EEPKT4_lPKT5_lS7_PT6_PKS3_21rocsparse_index_base_b,"axG",@progbits,_ZN9rocsparseL16sddmm_ell_kernelILi512ELi4EdiidddEEv20rocsparse_operation_S1_16rocsparse_order_S2_T3_S3_S3_T2_NS_24const_host_device_scalarIT1_EEPKT4_lPKT5_lS7_PT6_PKS3_21rocsparse_index_base_b,comdat
.Lfunc_end15:
	.size	_ZN9rocsparseL16sddmm_ell_kernelILi512ELi4EdiidddEEv20rocsparse_operation_S1_16rocsparse_order_S2_T3_S3_S3_T2_NS_24const_host_device_scalarIT1_EEPKT4_lPKT5_lS7_PT6_PKS3_21rocsparse_index_base_b, .Lfunc_end15-_ZN9rocsparseL16sddmm_ell_kernelILi512ELi4EdiidddEEv20rocsparse_operation_S1_16rocsparse_order_S2_T3_S3_S3_T2_NS_24const_host_device_scalarIT1_EEPKT4_lPKT5_lS7_PT6_PKS3_21rocsparse_index_base_b
                                        ; -- End function
	.section	.AMDGPU.csdata,"",@progbits
; Kernel info:
; codeLenInByte = 1388
; NumSgprs: 18
; NumVgprs: 20
; ScratchSize: 0
; MemoryBound: 0
; FloatMode: 240
; IeeeMode: 1
; LDSByteSize: 4096 bytes/workgroup (compile time only)
; SGPRBlocks: 2
; VGPRBlocks: 2
; NumSGPRsForWavesPerEU: 18
; NumVGPRsForWavesPerEU: 20
; Occupancy: 16
; WaveLimiterHint : 0
; COMPUTE_PGM_RSRC2:SCRATCH_EN: 0
; COMPUTE_PGM_RSRC2:USER_SGPR: 15
; COMPUTE_PGM_RSRC2:TRAP_HANDLER: 0
; COMPUTE_PGM_RSRC2:TGID_X_EN: 1
; COMPUTE_PGM_RSRC2:TGID_Y_EN: 0
; COMPUTE_PGM_RSRC2:TGID_Z_EN: 0
; COMPUTE_PGM_RSRC2:TIDIG_COMP_CNT: 0
	.section	.text._ZN9rocsparseL16sddmm_ell_kernelILi512ELi2EdiidddEEv20rocsparse_operation_S1_16rocsparse_order_S2_T3_S3_S3_T2_NS_24const_host_device_scalarIT1_EEPKT4_lPKT5_lS7_PT6_PKS3_21rocsparse_index_base_b,"axG",@progbits,_ZN9rocsparseL16sddmm_ell_kernelILi512ELi2EdiidddEEv20rocsparse_operation_S1_16rocsparse_order_S2_T3_S3_S3_T2_NS_24const_host_device_scalarIT1_EEPKT4_lPKT5_lS7_PT6_PKS3_21rocsparse_index_base_b,comdat
	.globl	_ZN9rocsparseL16sddmm_ell_kernelILi512ELi2EdiidddEEv20rocsparse_operation_S1_16rocsparse_order_S2_T3_S3_S3_T2_NS_24const_host_device_scalarIT1_EEPKT4_lPKT5_lS7_PT6_PKS3_21rocsparse_index_base_b ; -- Begin function _ZN9rocsparseL16sddmm_ell_kernelILi512ELi2EdiidddEEv20rocsparse_operation_S1_16rocsparse_order_S2_T3_S3_S3_T2_NS_24const_host_device_scalarIT1_EEPKT4_lPKT5_lS7_PT6_PKS3_21rocsparse_index_base_b
	.p2align	8
	.type	_ZN9rocsparseL16sddmm_ell_kernelILi512ELi2EdiidddEEv20rocsparse_operation_S1_16rocsparse_order_S2_T3_S3_S3_T2_NS_24const_host_device_scalarIT1_EEPKT4_lPKT5_lS7_PT6_PKS3_21rocsparse_index_base_b,@function
_ZN9rocsparseL16sddmm_ell_kernelILi512ELi2EdiidddEEv20rocsparse_operation_S1_16rocsparse_order_S2_T3_S3_S3_T2_NS_24const_host_device_scalarIT1_EEPKT4_lPKT5_lS7_PT6_PKS3_21rocsparse_index_base_b: ; @_ZN9rocsparseL16sddmm_ell_kernelILi512ELi2EdiidddEEv20rocsparse_operation_S1_16rocsparse_order_S2_T3_S3_S3_T2_NS_24const_host_device_scalarIT1_EEPKT4_lPKT5_lS7_PT6_PKS3_21rocsparse_index_base_b
; %bb.0:
	s_clause 0x2
	s_load_b64 s[8:9], s[0:1], 0x60
	s_load_b64 s[2:3], s[0:1], 0x20
	s_load_b128 s[4:7], s[0:1], 0x40
	s_waitcnt lgkmcnt(0)
	s_bitcmp1_b32 s9, 0
	v_dual_mov_b32 v1, s2 :: v_dual_mov_b32 v2, s3
	s_cselect_b32 s9, -1, 0
	s_delay_alu instid0(SALU_CYCLE_1)
	s_and_b32 vcc_lo, exec_lo, s9
	s_xor_b32 s9, s9, -1
	s_cbranch_vccnz .LBB16_2
; %bb.1:
	v_dual_mov_b32 v1, s2 :: v_dual_mov_b32 v2, s3
	flat_load_b64 v[1:2], v[1:2]
.LBB16_2:
	v_dual_mov_b32 v3, s6 :: v_dual_mov_b32 v4, s7
	s_and_not1_b32 vcc_lo, exec_lo, s9
	s_cbranch_vccnz .LBB16_4
; %bb.3:
	v_dual_mov_b32 v3, s6 :: v_dual_mov_b32 v4, s7
	flat_load_b64 v[3:4], v[3:4]
.LBB16_4:
	s_waitcnt vmcnt(0) lgkmcnt(0)
	v_cmp_neq_f64_e32 vcc_lo, 0, v[1:2]
	v_cmp_neq_f64_e64 s2, 1.0, v[3:4]
	s_delay_alu instid0(VALU_DEP_1) | instskip(NEXT) | instid1(SALU_CYCLE_1)
	s_or_b32 s2, vcc_lo, s2
	s_and_saveexec_b32 s3, s2
	s_cbranch_execz .LBB16_31
; %bb.5:
	s_load_b64 s[2:3], s[0:1], 0x18
	v_lshrrev_b32_e32 v13, 1, v0
	s_delay_alu instid0(VALU_DEP_1) | instskip(SKIP_1) | instid1(VALU_DEP_1)
	v_lshl_or_b32 v5, s15, 8, v13
	s_waitcnt lgkmcnt(0)
	v_cmp_gt_i32_e32 vcc_lo, s3, v5
	s_and_b32 exec_lo, exec_lo, vcc_lo
	s_cbranch_execz .LBB16_31
; %bb.6:
	s_load_b64 s[6:7], s[0:1], 0x58
	v_ashrrev_i32_e32 v6, 31, v5
	s_mov_b32 s13, -1
	s_delay_alu instid0(VALU_DEP_1) | instskip(SKIP_1) | instid1(VALU_DEP_1)
	v_lshlrev_b64 v[7:8], 2, v[5:6]
	s_waitcnt lgkmcnt(0)
	v_add_co_u32 v7, vcc_lo, s6, v7
	s_delay_alu instid0(VALU_DEP_2) | instskip(SKIP_3) | instid1(VALU_DEP_1)
	v_add_co_ci_u32_e32 v8, vcc_lo, s7, v8, vcc_lo
	global_load_b32 v7, v[7:8], off
	s_waitcnt vmcnt(0)
	v_subrev_nc_u32_e32 v7, s8, v7
	v_cmp_lt_i32_e32 vcc_lo, -1, v7
	s_and_b32 exec_lo, exec_lo, vcc_lo
	s_cbranch_execz .LBB16_31
; %bb.7:
	s_clause 0x1
	s_load_b128 s[8:11], s[0:1], 0x0
	s_load_b32 s6, s[0:1], 0x10
	v_sub_nc_u32_e32 v10, 0, v5
	s_waitcnt lgkmcnt(0)
	s_cmp_eq_u32 s10, 1
	s_cselect_b32 s3, -1, 0
	s_cmpk_eq_i32 s8, 0x6f
	s_cselect_b32 s12, -1, 0
	s_cmpk_lg_i32 s8, 0x6f
	s_cselect_b32 s8, -1, 0
	s_abs_i32 s14, s6
	s_delay_alu instid0(SALU_CYCLE_1) | instskip(SKIP_2) | instid1(VALU_DEP_1)
	v_cvt_f32_u32_e32 v8, s14
	s_sub_i32 s6, 0, s14
	s_cmp_lg_u32 s10, 1
	v_rcp_iflag_f32_e32 v8, v8
	s_waitcnt_depctr 0xfff
	v_mul_f32_e32 v8, 0x4f7ffffe, v8
	s_delay_alu instid0(VALU_DEP_1) | instskip(NEXT) | instid1(VALU_DEP_1)
	v_cvt_u32_f32_e32 v8, v8
	v_mul_lo_u32 v9, s6, v8
	s_load_b64 s[6:7], s[0:1], 0x30
	s_delay_alu instid0(VALU_DEP_1) | instskip(NEXT) | instid1(VALU_DEP_1)
	v_mul_hi_u32 v9, v8, v9
	v_add_nc_u32_e32 v8, v8, v9
	v_max_i32_e32 v9, v5, v10
	s_delay_alu instid0(VALU_DEP_1) | instskip(NEXT) | instid1(VALU_DEP_1)
	v_mul_hi_u32 v8, v9, v8
	v_mul_lo_u32 v8, v8, s14
	s_delay_alu instid0(VALU_DEP_1) | instskip(NEXT) | instid1(VALU_DEP_1)
	v_sub_nc_u32_e32 v8, v9, v8
	v_subrev_nc_u32_e32 v9, s14, v8
	v_cmp_le_u32_e32 vcc_lo, s14, v8
	s_delay_alu instid0(VALU_DEP_2) | instskip(NEXT) | instid1(VALU_DEP_1)
	v_cndmask_b32_e32 v8, v8, v9, vcc_lo
	v_subrev_nc_u32_e32 v9, s14, v8
	v_cmp_le_u32_e32 vcc_lo, s14, v8
	s_delay_alu instid0(VALU_DEP_2) | instskip(NEXT) | instid1(VALU_DEP_1)
	v_cndmask_b32_e32 v8, v8, v9, vcc_lo
	v_xor_b32_e32 v8, v8, v6
	s_delay_alu instid0(VALU_DEP_1) | instskip(NEXT) | instid1(VALU_DEP_1)
	v_sub_nc_u32_e32 v11, v8, v6
	v_ashrrev_i32_e32 v12, 31, v11
	s_cbranch_scc0 .LBB16_11
; %bb.8:
	s_delay_alu instid0(VALU_DEP_1)
	v_dual_mov_b32 v9, v11 :: v_dual_mov_b32 v10, v12
	s_and_not1_b32 vcc_lo, exec_lo, s12
	s_cbranch_vccnz .LBB16_10
; %bb.9:
	s_waitcnt lgkmcnt(0)
	v_mul_lo_u32 v8, v12, s6
	v_mul_lo_u32 v14, v11, s7
	v_mad_u64_u32 v[9:10], null, v11, s6, 0
	s_delay_alu instid0(VALU_DEP_1)
	v_add3_u32 v10, v10, v14, v8
.LBB16_10:
	s_cbranch_execz .LBB16_12
	s_branch .LBB16_15
.LBB16_11:
                                        ; implicit-def: $vgpr9_vgpr10
	s_and_not1_b32 vcc_lo, exec_lo, s13
	s_cbranch_vccnz .LBB16_15
.LBB16_12:
	s_and_not1_b32 vcc_lo, exec_lo, s8
	s_cbranch_vccnz .LBB16_14
; %bb.13:
	s_waitcnt lgkmcnt(0)
	v_mul_lo_u32 v10, v12, s6
	v_mul_lo_u32 v12, v11, s7
	v_mad_u64_u32 v[8:9], null, v11, s6, 0
	s_delay_alu instid0(VALU_DEP_1) | instskip(NEXT) | instid1(VALU_DEP_1)
	v_add3_u32 v9, v9, v12, v10
	v_dual_mov_b32 v12, v9 :: v_dual_mov_b32 v11, v8
.LBB16_14:
	s_delay_alu instid0(VALU_DEP_1)
	v_dual_mov_b32 v9, v11 :: v_dual_mov_b32 v10, v12
.LBB16_15:
	s_cmp_eq_u32 s11, 1
	v_mov_b32_e32 v8, 0
	s_cselect_b32 s13, -1, 0
	s_cmpk_eq_i32 s9, 0x6f
	s_cselect_b32 s14, -1, 0
	s_cmpk_lg_i32 s9, 0x6f
	s_cselect_b32 s8, -1, 0
	s_cmp_lg_u32 s11, 1
	s_cbranch_scc0 .LBB16_19
; %bb.16:
	v_dual_mov_b32 v12, v8 :: v_dual_mov_b32 v11, v7
	s_and_not1_b32 vcc_lo, exec_lo, s8
	s_cbranch_vccnz .LBB16_18
; %bb.17:
	v_mad_u64_u32 v[11:12], null, v7, s4, 0
	s_delay_alu instid0(VALU_DEP_1) | instskip(NEXT) | instid1(VALU_DEP_1)
	v_mad_u64_u32 v[14:15], null, v7, s5, v[12:13]
	v_mov_b32_e32 v12, v14
.LBB16_18:
	s_cbranch_execz .LBB16_20
	s_branch .LBB16_23
.LBB16_19:
                                        ; implicit-def: $vgpr11_vgpr12
.LBB16_20:
	s_and_not1_b32 vcc_lo, exec_lo, s14
	s_cbranch_vccnz .LBB16_22
; %bb.21:
	v_mad_u64_u32 v[11:12], null, v7, s4, 0
	s_delay_alu instid0(VALU_DEP_1) | instskip(NEXT) | instid1(VALU_DEP_1)
	v_mov_b32_e32 v8, v12
	v_mad_u64_u32 v[14:15], null, v7, s5, v[8:9]
	s_delay_alu instid0(VALU_DEP_1) | instskip(NEXT) | instid1(VALU_DEP_1)
	v_mov_b32_e32 v12, v14
	v_dual_mov_b32 v7, v11 :: v_dual_mov_b32 v8, v12
.LBB16_22:
	s_delay_alu instid0(VALU_DEP_1)
	v_dual_mov_b32 v12, v8 :: v_dual_mov_b32 v11, v7
.LBB16_23:
	s_load_b64 s[8:9], s[0:1], 0x50
	v_dual_mov_b32 v7, 0 :: v_dual_and_b32 v14, 1, v0
	v_mov_b32_e32 v8, 0
	s_mov_b32 s10, exec_lo
	s_delay_alu instid0(VALU_DEP_2)
	v_cmpx_gt_i32_e64 s2, v14
	s_cbranch_execz .LBB16_27
; %bb.24:
	s_xor_b32 s3, s12, s3
	v_and_b32_e32 v0, 1, v0
	s_and_b32 s3, s3, exec_lo
	s_waitcnt lgkmcnt(0)
	s_cselect_b32 s7, 0, s7
	s_cselect_b32 s6, 1, s6
	s_xor_b32 s3, s14, s13
	v_mul_lo_u32 v8, s7, v0
	s_and_b32 s3, s3, exec_lo
	s_cselect_b32 s13, s5, 0
	v_mul_lo_u32 v7, s6, v0
	s_cselect_b32 s12, s4, 1
	s_load_b64 s[4:5], s[0:1], 0x28
	v_mul_lo_u32 v16, s13, v0
	v_mul_lo_u32 v15, s12, v0
	s_load_b64 s[0:1], s[0:1], 0x38
	v_lshlrev_b64 v[9:10], 3, v[9:10]
	v_lshlrev_b64 v[11:12], 3, v[11:12]
	;; [unrolled: 1-line block ×3, first 2 shown]
	s_delay_alu instid0(VALU_DEP_4) | instskip(NEXT) | instid1(VALU_DEP_2)
	v_lshlrev_b64 v[15:16], 3, v[15:16]
	v_add_co_u32 v0, vcc_lo, v7, v9
	s_delay_alu instid0(VALU_DEP_3) | instskip(NEXT) | instid1(VALU_DEP_3)
	v_add_co_ci_u32_e32 v7, vcc_lo, v8, v10, vcc_lo
	v_add_co_u32 v8, vcc_lo, v15, v11
	s_delay_alu instid0(VALU_DEP_4)
	v_add_co_ci_u32_e32 v12, vcc_lo, v16, v12, vcc_lo
	s_waitcnt lgkmcnt(0)
	v_add_co_u32 v9, vcc_lo, s4, v0
	v_add_co_ci_u32_e32 v10, vcc_lo, s5, v7, vcc_lo
	v_add_co_u32 v11, vcc_lo, s0, v8
	v_mov_b32_e32 v7, 0
	v_add_co_ci_u32_e32 v12, vcc_lo, s1, v12, vcc_lo
	v_mov_b32_e32 v8, 0
	v_mov_b32_e32 v0, v14
	s_mov_b32 s1, 0
	s_lshl_b64 s[4:5], s[6:7], 4
	s_lshl_b64 s[6:7], s[12:13], 4
	.p2align	6
.LBB16_25:                              ; =>This Inner Loop Header: Depth=1
	global_load_b64 v[15:16], v[9:10], off
	global_load_b64 v[17:18], v[11:12], off
	v_add_nc_u32_e32 v0, 2, v0
	v_add_co_u32 v9, vcc_lo, v9, s4
	v_add_co_ci_u32_e32 v10, vcc_lo, s5, v10, vcc_lo
	s_delay_alu instid0(VALU_DEP_3) | instskip(SKIP_1) | instid1(VALU_DEP_1)
	v_cmp_le_i32_e32 vcc_lo, s2, v0
	v_add_co_u32 v11, s0, v11, s6
	v_add_co_ci_u32_e64 v12, s0, s7, v12, s0
	s_or_b32 s1, vcc_lo, s1
	s_waitcnt vmcnt(0)
	v_fma_f64 v[7:8], v[15:16], v[17:18], v[7:8]
	s_and_not1_b32 exec_lo, exec_lo, s1
	s_cbranch_execnz .LBB16_25
; %bb.26:
	s_or_b32 exec_lo, exec_lo, s1
.LBB16_27:
	s_delay_alu instid0(SALU_CYCLE_1) | instskip(SKIP_2) | instid1(VALU_DEP_2)
	s_or_b32 exec_lo, exec_lo, s10
	v_lshlrev_b32_e32 v0, 4, v13
	v_cmp_eq_u32_e32 vcc_lo, 0, v14
	v_lshl_or_b32 v9, v14, 3, v0
	ds_store_b64 v9, v[7:8]
	s_waitcnt lgkmcnt(0)
	s_barrier
	buffer_gl0_inv
	s_and_saveexec_b32 s0, vcc_lo
	s_cbranch_execz .LBB16_29
; %bb.28:
	ds_load_b64 v[7:8], v0 offset:8
	ds_load_b64 v[10:11], v9
	s_waitcnt lgkmcnt(0)
	v_add_f64 v[7:8], v[7:8], v[10:11]
	ds_store_b64 v9, v[7:8]
.LBB16_29:
	s_or_b32 exec_lo, exec_lo, s0
	s_waitcnt lgkmcnt(0)
	s_barrier
	buffer_gl0_inv
	s_and_b32 exec_lo, exec_lo, vcc_lo
	s_cbranch_execz .LBB16_31
; %bb.30:
	v_lshlrev_b64 v[5:6], 3, v[5:6]
	ds_load_b64 v[9:10], v0
	v_add_co_u32 v5, vcc_lo, s8, v5
	v_add_co_ci_u32_e32 v6, vcc_lo, s9, v6, vcc_lo
	global_load_b64 v[7:8], v[5:6], off
	s_waitcnt lgkmcnt(0)
	v_mul_f64 v[0:1], v[1:2], v[9:10]
	s_waitcnt vmcnt(0)
	s_delay_alu instid0(VALU_DEP_1)
	v_fma_f64 v[0:1], v[3:4], v[7:8], v[0:1]
	global_store_b64 v[5:6], v[0:1], off
.LBB16_31:
	s_nop 0
	s_sendmsg sendmsg(MSG_DEALLOC_VGPRS)
	s_endpgm
	.section	.rodata,"a",@progbits
	.p2align	6, 0x0
	.amdhsa_kernel _ZN9rocsparseL16sddmm_ell_kernelILi512ELi2EdiidddEEv20rocsparse_operation_S1_16rocsparse_order_S2_T3_S3_S3_T2_NS_24const_host_device_scalarIT1_EEPKT4_lPKT5_lS7_PT6_PKS3_21rocsparse_index_base_b
		.amdhsa_group_segment_fixed_size 4096
		.amdhsa_private_segment_fixed_size 0
		.amdhsa_kernarg_size 104
		.amdhsa_user_sgpr_count 15
		.amdhsa_user_sgpr_dispatch_ptr 0
		.amdhsa_user_sgpr_queue_ptr 0
		.amdhsa_user_sgpr_kernarg_segment_ptr 1
		.amdhsa_user_sgpr_dispatch_id 0
		.amdhsa_user_sgpr_private_segment_size 0
		.amdhsa_wavefront_size32 1
		.amdhsa_uses_dynamic_stack 0
		.amdhsa_enable_private_segment 0
		.amdhsa_system_sgpr_workgroup_id_x 1
		.amdhsa_system_sgpr_workgroup_id_y 0
		.amdhsa_system_sgpr_workgroup_id_z 0
		.amdhsa_system_sgpr_workgroup_info 0
		.amdhsa_system_vgpr_workitem_id 0
		.amdhsa_next_free_vgpr 19
		.amdhsa_next_free_sgpr 16
		.amdhsa_reserve_vcc 1
		.amdhsa_float_round_mode_32 0
		.amdhsa_float_round_mode_16_64 0
		.amdhsa_float_denorm_mode_32 3
		.amdhsa_float_denorm_mode_16_64 3
		.amdhsa_dx10_clamp 1
		.amdhsa_ieee_mode 1
		.amdhsa_fp16_overflow 0
		.amdhsa_workgroup_processor_mode 1
		.amdhsa_memory_ordered 1
		.amdhsa_forward_progress 0
		.amdhsa_shared_vgpr_count 0
		.amdhsa_exception_fp_ieee_invalid_op 0
		.amdhsa_exception_fp_denorm_src 0
		.amdhsa_exception_fp_ieee_div_zero 0
		.amdhsa_exception_fp_ieee_overflow 0
		.amdhsa_exception_fp_ieee_underflow 0
		.amdhsa_exception_fp_ieee_inexact 0
		.amdhsa_exception_int_div_zero 0
	.end_amdhsa_kernel
	.section	.text._ZN9rocsparseL16sddmm_ell_kernelILi512ELi2EdiidddEEv20rocsparse_operation_S1_16rocsparse_order_S2_T3_S3_S3_T2_NS_24const_host_device_scalarIT1_EEPKT4_lPKT5_lS7_PT6_PKS3_21rocsparse_index_base_b,"axG",@progbits,_ZN9rocsparseL16sddmm_ell_kernelILi512ELi2EdiidddEEv20rocsparse_operation_S1_16rocsparse_order_S2_T3_S3_S3_T2_NS_24const_host_device_scalarIT1_EEPKT4_lPKT5_lS7_PT6_PKS3_21rocsparse_index_base_b,comdat
.Lfunc_end16:
	.size	_ZN9rocsparseL16sddmm_ell_kernelILi512ELi2EdiidddEEv20rocsparse_operation_S1_16rocsparse_order_S2_T3_S3_S3_T2_NS_24const_host_device_scalarIT1_EEPKT4_lPKT5_lS7_PT6_PKS3_21rocsparse_index_base_b, .Lfunc_end16-_ZN9rocsparseL16sddmm_ell_kernelILi512ELi2EdiidddEEv20rocsparse_operation_S1_16rocsparse_order_S2_T3_S3_S3_T2_NS_24const_host_device_scalarIT1_EEPKT4_lPKT5_lS7_PT6_PKS3_21rocsparse_index_base_b
                                        ; -- End function
	.section	.AMDGPU.csdata,"",@progbits
; Kernel info:
; codeLenInByte = 1296
; NumSgprs: 18
; NumVgprs: 19
; ScratchSize: 0
; MemoryBound: 0
; FloatMode: 240
; IeeeMode: 1
; LDSByteSize: 4096 bytes/workgroup (compile time only)
; SGPRBlocks: 2
; VGPRBlocks: 2
; NumSGPRsForWavesPerEU: 18
; NumVGPRsForWavesPerEU: 19
; Occupancy: 16
; WaveLimiterHint : 0
; COMPUTE_PGM_RSRC2:SCRATCH_EN: 0
; COMPUTE_PGM_RSRC2:USER_SGPR: 15
; COMPUTE_PGM_RSRC2:TRAP_HANDLER: 0
; COMPUTE_PGM_RSRC2:TGID_X_EN: 1
; COMPUTE_PGM_RSRC2:TGID_Y_EN: 0
; COMPUTE_PGM_RSRC2:TGID_Z_EN: 0
; COMPUTE_PGM_RSRC2:TIDIG_COMP_CNT: 0
	.section	.text._ZN9rocsparseL16sddmm_ell_kernelILi512ELi1EdiidddEEv20rocsparse_operation_S1_16rocsparse_order_S2_T3_S3_S3_T2_NS_24const_host_device_scalarIT1_EEPKT4_lPKT5_lS7_PT6_PKS3_21rocsparse_index_base_b,"axG",@progbits,_ZN9rocsparseL16sddmm_ell_kernelILi512ELi1EdiidddEEv20rocsparse_operation_S1_16rocsparse_order_S2_T3_S3_S3_T2_NS_24const_host_device_scalarIT1_EEPKT4_lPKT5_lS7_PT6_PKS3_21rocsparse_index_base_b,comdat
	.globl	_ZN9rocsparseL16sddmm_ell_kernelILi512ELi1EdiidddEEv20rocsparse_operation_S1_16rocsparse_order_S2_T3_S3_S3_T2_NS_24const_host_device_scalarIT1_EEPKT4_lPKT5_lS7_PT6_PKS3_21rocsparse_index_base_b ; -- Begin function _ZN9rocsparseL16sddmm_ell_kernelILi512ELi1EdiidddEEv20rocsparse_operation_S1_16rocsparse_order_S2_T3_S3_S3_T2_NS_24const_host_device_scalarIT1_EEPKT4_lPKT5_lS7_PT6_PKS3_21rocsparse_index_base_b
	.p2align	8
	.type	_ZN9rocsparseL16sddmm_ell_kernelILi512ELi1EdiidddEEv20rocsparse_operation_S1_16rocsparse_order_S2_T3_S3_S3_T2_NS_24const_host_device_scalarIT1_EEPKT4_lPKT5_lS7_PT6_PKS3_21rocsparse_index_base_b,@function
_ZN9rocsparseL16sddmm_ell_kernelILi512ELi1EdiidddEEv20rocsparse_operation_S1_16rocsparse_order_S2_T3_S3_S3_T2_NS_24const_host_device_scalarIT1_EEPKT4_lPKT5_lS7_PT6_PKS3_21rocsparse_index_base_b: ; @_ZN9rocsparseL16sddmm_ell_kernelILi512ELi1EdiidddEEv20rocsparse_operation_S1_16rocsparse_order_S2_T3_S3_S3_T2_NS_24const_host_device_scalarIT1_EEPKT4_lPKT5_lS7_PT6_PKS3_21rocsparse_index_base_b
; %bb.0:
	s_clause 0x2
	s_load_b64 s[8:9], s[0:1], 0x60
	s_load_b64 s[2:3], s[0:1], 0x20
	s_load_b128 s[4:7], s[0:1], 0x40
	s_waitcnt lgkmcnt(0)
	s_bitcmp1_b32 s9, 0
	v_dual_mov_b32 v1, s2 :: v_dual_mov_b32 v2, s3
	s_cselect_b32 s9, -1, 0
	s_delay_alu instid0(SALU_CYCLE_1)
	s_and_b32 vcc_lo, exec_lo, s9
	s_xor_b32 s9, s9, -1
	s_cbranch_vccnz .LBB17_2
; %bb.1:
	v_dual_mov_b32 v1, s2 :: v_dual_mov_b32 v2, s3
	flat_load_b64 v[1:2], v[1:2]
.LBB17_2:
	v_dual_mov_b32 v3, s6 :: v_dual_mov_b32 v4, s7
	s_and_not1_b32 vcc_lo, exec_lo, s9
	s_cbranch_vccnz .LBB17_4
; %bb.3:
	v_dual_mov_b32 v3, s6 :: v_dual_mov_b32 v4, s7
	flat_load_b64 v[3:4], v[3:4]
.LBB17_4:
	s_waitcnt vmcnt(0) lgkmcnt(0)
	v_cmp_neq_f64_e32 vcc_lo, 0, v[1:2]
	v_cmp_neq_f64_e64 s2, 1.0, v[3:4]
	s_delay_alu instid0(VALU_DEP_1) | instskip(NEXT) | instid1(SALU_CYCLE_1)
	s_or_b32 s2, vcc_lo, s2
	s_and_saveexec_b32 s3, s2
	s_cbranch_execz .LBB17_28
; %bb.5:
	s_load_b64 s[2:3], s[0:1], 0x18
	v_lshl_or_b32 v5, s15, 9, v0
	s_waitcnt lgkmcnt(0)
	s_delay_alu instid0(VALU_DEP_1)
	v_cmp_gt_i32_e32 vcc_lo, s3, v5
	s_and_b32 exec_lo, exec_lo, vcc_lo
	s_cbranch_execz .LBB17_28
; %bb.6:
	s_load_b64 s[6:7], s[0:1], 0x58
	v_ashrrev_i32_e32 v6, 31, v5
	s_mov_b32 s13, -1
	s_delay_alu instid0(VALU_DEP_1) | instskip(SKIP_1) | instid1(VALU_DEP_1)
	v_lshlrev_b64 v[7:8], 2, v[5:6]
	s_waitcnt lgkmcnt(0)
	v_add_co_u32 v7, vcc_lo, s6, v7
	s_delay_alu instid0(VALU_DEP_2) | instskip(SKIP_3) | instid1(VALU_DEP_1)
	v_add_co_ci_u32_e32 v8, vcc_lo, s7, v8, vcc_lo
	global_load_b32 v7, v[7:8], off
	s_waitcnt vmcnt(0)
	v_subrev_nc_u32_e32 v7, s8, v7
	v_cmp_lt_i32_e32 vcc_lo, -1, v7
	s_and_b32 exec_lo, exec_lo, vcc_lo
	s_cbranch_execz .LBB17_28
; %bb.7:
	s_clause 0x1
	s_load_b128 s[8:11], s[0:1], 0x0
	s_load_b32 s6, s[0:1], 0x10
	v_sub_nc_u32_e32 v10, 0, v5
	s_waitcnt lgkmcnt(0)
	s_cmp_eq_u32 s10, 1
	s_cselect_b32 s3, -1, 0
	s_cmpk_eq_i32 s8, 0x6f
	s_cselect_b32 s12, -1, 0
	s_cmpk_lg_i32 s8, 0x6f
	s_cselect_b32 s8, -1, 0
	s_abs_i32 s14, s6
	s_delay_alu instid0(SALU_CYCLE_1) | instskip(SKIP_2) | instid1(VALU_DEP_1)
	v_cvt_f32_u32_e32 v8, s14
	s_sub_i32 s6, 0, s14
	s_cmp_lg_u32 s10, 1
	v_rcp_iflag_f32_e32 v8, v8
	s_waitcnt_depctr 0xfff
	v_mul_f32_e32 v8, 0x4f7ffffe, v8
	s_delay_alu instid0(VALU_DEP_1) | instskip(NEXT) | instid1(VALU_DEP_1)
	v_cvt_u32_f32_e32 v8, v8
	v_mul_lo_u32 v9, s6, v8
	s_load_b64 s[6:7], s[0:1], 0x30
	s_delay_alu instid0(VALU_DEP_1) | instskip(NEXT) | instid1(VALU_DEP_1)
	v_mul_hi_u32 v9, v8, v9
	v_add_nc_u32_e32 v8, v8, v9
	v_max_i32_e32 v9, v5, v10
	s_delay_alu instid0(VALU_DEP_1) | instskip(NEXT) | instid1(VALU_DEP_1)
	v_mul_hi_u32 v8, v9, v8
	v_mul_lo_u32 v8, v8, s14
	s_delay_alu instid0(VALU_DEP_1) | instskip(NEXT) | instid1(VALU_DEP_1)
	v_sub_nc_u32_e32 v8, v9, v8
	v_subrev_nc_u32_e32 v9, s14, v8
	v_cmp_le_u32_e32 vcc_lo, s14, v8
	s_delay_alu instid0(VALU_DEP_2) | instskip(NEXT) | instid1(VALU_DEP_1)
	v_cndmask_b32_e32 v8, v8, v9, vcc_lo
	v_subrev_nc_u32_e32 v9, s14, v8
	v_cmp_le_u32_e32 vcc_lo, s14, v8
	s_delay_alu instid0(VALU_DEP_2) | instskip(NEXT) | instid1(VALU_DEP_1)
	v_cndmask_b32_e32 v8, v8, v9, vcc_lo
	v_xor_b32_e32 v8, v8, v6
	s_delay_alu instid0(VALU_DEP_1) | instskip(NEXT) | instid1(VALU_DEP_1)
	v_sub_nc_u32_e32 v11, v8, v6
	v_ashrrev_i32_e32 v12, 31, v11
	s_cbranch_scc0 .LBB17_11
; %bb.8:
	s_delay_alu instid0(VALU_DEP_1)
	v_dual_mov_b32 v9, v11 :: v_dual_mov_b32 v10, v12
	s_and_not1_b32 vcc_lo, exec_lo, s12
	s_cbranch_vccnz .LBB17_10
; %bb.9:
	s_waitcnt lgkmcnt(0)
	v_mul_lo_u32 v8, v12, s6
	v_mul_lo_u32 v13, v11, s7
	v_mad_u64_u32 v[9:10], null, v11, s6, 0
	s_delay_alu instid0(VALU_DEP_1)
	v_add3_u32 v10, v10, v13, v8
.LBB17_10:
	s_cbranch_execz .LBB17_12
	s_branch .LBB17_15
.LBB17_11:
                                        ; implicit-def: $vgpr9_vgpr10
	s_and_not1_b32 vcc_lo, exec_lo, s13
	s_cbranch_vccnz .LBB17_15
.LBB17_12:
	s_and_not1_b32 vcc_lo, exec_lo, s8
	s_cbranch_vccnz .LBB17_14
; %bb.13:
	s_waitcnt lgkmcnt(0)
	v_mul_lo_u32 v10, v12, s6
	v_mul_lo_u32 v12, v11, s7
	v_mad_u64_u32 v[8:9], null, v11, s6, 0
	s_delay_alu instid0(VALU_DEP_1) | instskip(NEXT) | instid1(VALU_DEP_1)
	v_add3_u32 v9, v9, v12, v10
	v_dual_mov_b32 v12, v9 :: v_dual_mov_b32 v11, v8
.LBB17_14:
	s_delay_alu instid0(VALU_DEP_1)
	v_dual_mov_b32 v9, v11 :: v_dual_mov_b32 v10, v12
.LBB17_15:
	s_cmp_eq_u32 s11, 1
	v_mov_b32_e32 v8, 0
	s_cselect_b32 s10, -1, 0
	s_cmpk_eq_i32 s9, 0x6f
	s_cselect_b32 s13, -1, 0
	s_cmpk_lg_i32 s9, 0x6f
	s_cselect_b32 s8, -1, 0
	s_cmp_lg_u32 s11, 1
	s_cbranch_scc0 .LBB17_19
; %bb.16:
	v_dual_mov_b32 v12, v8 :: v_dual_mov_b32 v11, v7
	s_and_not1_b32 vcc_lo, exec_lo, s8
	s_cbranch_vccnz .LBB17_18
; %bb.17:
	v_mad_u64_u32 v[11:12], null, v7, s4, 0
	s_delay_alu instid0(VALU_DEP_1) | instskip(NEXT) | instid1(VALU_DEP_1)
	v_mad_u64_u32 v[13:14], null, v7, s5, v[12:13]
	v_mov_b32_e32 v12, v13
.LBB17_18:
	s_cbranch_execz .LBB17_20
	s_branch .LBB17_23
.LBB17_19:
                                        ; implicit-def: $vgpr11_vgpr12
.LBB17_20:
	s_and_not1_b32 vcc_lo, exec_lo, s13
	s_cbranch_vccnz .LBB17_22
; %bb.21:
	v_mad_u64_u32 v[11:12], null, v7, s4, 0
	s_delay_alu instid0(VALU_DEP_1) | instskip(NEXT) | instid1(VALU_DEP_1)
	v_mov_b32_e32 v8, v12
	v_mad_u64_u32 v[12:13], null, v7, s5, v[8:9]
	s_delay_alu instid0(VALU_DEP_1)
	v_dual_mov_b32 v7, v11 :: v_dual_mov_b32 v8, v12
.LBB17_22:
	s_delay_alu instid0(VALU_DEP_1)
	v_dual_mov_b32 v12, v8 :: v_dual_mov_b32 v11, v7
.LBB17_23:
	s_load_b64 s[8:9], s[0:1], 0x50
	s_cmp_lt_i32 s2, 1
	s_cbranch_scc1 .LBB17_26
; %bb.24:
	s_clause 0x1
	s_load_b64 s[14:15], s[0:1], 0x38
	s_load_b64 s[0:1], s[0:1], 0x28
	v_lshlrev_b64 v[11:12], 3, v[11:12]
	v_lshlrev_b64 v[13:14], 3, v[9:10]
	s_xor_b32 s3, s12, s3
	v_mov_b32_e32 v7, 0
	s_and_b32 s3, s3, exec_lo
	s_waitcnt lgkmcnt(0)
	s_cselect_b32 s7, 0, s7
	s_cselect_b32 s6, 1, s6
	s_xor_b32 s3, s13, s10
	v_mov_b32_e32 v8, 0
	s_and_b32 s3, s3, exec_lo
	s_cselect_b32 s5, s5, 0
	s_cselect_b32 s4, s4, 1
	s_delay_alu instid0(SALU_CYCLE_1)
	s_lshl_b64 s[4:5], s[4:5], 3
	v_add_co_u32 v9, vcc_lo, s14, v11
	v_add_co_ci_u32_e32 v10, vcc_lo, s15, v12, vcc_lo
	v_add_co_u32 v11, vcc_lo, s0, v13
	v_add_co_ci_u32_e32 v12, vcc_lo, s1, v14, vcc_lo
	s_lshl_b64 s[0:1], s[6:7], 3
.LBB17_25:                              ; =>This Inner Loop Header: Depth=1
	global_load_b64 v[13:14], v[11:12], off
	global_load_b64 v[15:16], v[9:10], off
	v_add_co_u32 v11, vcc_lo, v11, s0
	v_add_co_ci_u32_e32 v12, vcc_lo, s1, v12, vcc_lo
	v_add_co_u32 v9, vcc_lo, v9, s4
	v_add_co_ci_u32_e32 v10, vcc_lo, s5, v10, vcc_lo
	s_add_i32 s2, s2, -1
	s_delay_alu instid0(SALU_CYCLE_1)
	s_cmp_eq_u32 s2, 0
	s_waitcnt vmcnt(0)
	v_fma_f64 v[7:8], v[13:14], v[15:16], v[7:8]
	s_cbranch_scc0 .LBB17_25
	s_branch .LBB17_27
.LBB17_26:
	v_mov_b32_e32 v7, 0
	v_mov_b32_e32 v8, 0
.LBB17_27:
	v_lshlrev_b64 v[5:6], 3, v[5:6]
	v_lshlrev_b32_e32 v0, 3, v0
	ds_store_b64 v0, v[7:8]
	s_waitcnt lgkmcnt(0)
	v_add_co_u32 v5, vcc_lo, s8, v5
	v_add_co_ci_u32_e32 v6, vcc_lo, s9, v6, vcc_lo
	s_barrier
	buffer_gl0_inv
	global_load_b64 v[7:8], v[5:6], off
	ds_load_b64 v[9:10], v0
	s_waitcnt lgkmcnt(0)
	v_mul_f64 v[0:1], v[1:2], v[9:10]
	s_waitcnt vmcnt(0)
	s_delay_alu instid0(VALU_DEP_1)
	v_fma_f64 v[0:1], v[3:4], v[7:8], v[0:1]
	global_store_b64 v[5:6], v[0:1], off
.LBB17_28:
	s_nop 0
	s_sendmsg sendmsg(MSG_DEALLOC_VGPRS)
	s_endpgm
	.section	.rodata,"a",@progbits
	.p2align	6, 0x0
	.amdhsa_kernel _ZN9rocsparseL16sddmm_ell_kernelILi512ELi1EdiidddEEv20rocsparse_operation_S1_16rocsparse_order_S2_T3_S3_S3_T2_NS_24const_host_device_scalarIT1_EEPKT4_lPKT5_lS7_PT6_PKS3_21rocsparse_index_base_b
		.amdhsa_group_segment_fixed_size 4096
		.amdhsa_private_segment_fixed_size 0
		.amdhsa_kernarg_size 104
		.amdhsa_user_sgpr_count 15
		.amdhsa_user_sgpr_dispatch_ptr 0
		.amdhsa_user_sgpr_queue_ptr 0
		.amdhsa_user_sgpr_kernarg_segment_ptr 1
		.amdhsa_user_sgpr_dispatch_id 0
		.amdhsa_user_sgpr_private_segment_size 0
		.amdhsa_wavefront_size32 1
		.amdhsa_uses_dynamic_stack 0
		.amdhsa_enable_private_segment 0
		.amdhsa_system_sgpr_workgroup_id_x 1
		.amdhsa_system_sgpr_workgroup_id_y 0
		.amdhsa_system_sgpr_workgroup_id_z 0
		.amdhsa_system_sgpr_workgroup_info 0
		.amdhsa_system_vgpr_workitem_id 0
		.amdhsa_next_free_vgpr 17
		.amdhsa_next_free_sgpr 16
		.amdhsa_reserve_vcc 1
		.amdhsa_float_round_mode_32 0
		.amdhsa_float_round_mode_16_64 0
		.amdhsa_float_denorm_mode_32 3
		.amdhsa_float_denorm_mode_16_64 3
		.amdhsa_dx10_clamp 1
		.amdhsa_ieee_mode 1
		.amdhsa_fp16_overflow 0
		.amdhsa_workgroup_processor_mode 1
		.amdhsa_memory_ordered 1
		.amdhsa_forward_progress 0
		.amdhsa_shared_vgpr_count 0
		.amdhsa_exception_fp_ieee_invalid_op 0
		.amdhsa_exception_fp_denorm_src 0
		.amdhsa_exception_fp_ieee_div_zero 0
		.amdhsa_exception_fp_ieee_overflow 0
		.amdhsa_exception_fp_ieee_underflow 0
		.amdhsa_exception_fp_ieee_inexact 0
		.amdhsa_exception_int_div_zero 0
	.end_amdhsa_kernel
	.section	.text._ZN9rocsparseL16sddmm_ell_kernelILi512ELi1EdiidddEEv20rocsparse_operation_S1_16rocsparse_order_S2_T3_S3_S3_T2_NS_24const_host_device_scalarIT1_EEPKT4_lPKT5_lS7_PT6_PKS3_21rocsparse_index_base_b,"axG",@progbits,_ZN9rocsparseL16sddmm_ell_kernelILi512ELi1EdiidddEEv20rocsparse_operation_S1_16rocsparse_order_S2_T3_S3_S3_T2_NS_24const_host_device_scalarIT1_EEPKT4_lPKT5_lS7_PT6_PKS3_21rocsparse_index_base_b,comdat
.Lfunc_end17:
	.size	_ZN9rocsparseL16sddmm_ell_kernelILi512ELi1EdiidddEEv20rocsparse_operation_S1_16rocsparse_order_S2_T3_S3_S3_T2_NS_24const_host_device_scalarIT1_EEPKT4_lPKT5_lS7_PT6_PKS3_21rocsparse_index_base_b, .Lfunc_end17-_ZN9rocsparseL16sddmm_ell_kernelILi512ELi1EdiidddEEv20rocsparse_operation_S1_16rocsparse_order_S2_T3_S3_S3_T2_NS_24const_host_device_scalarIT1_EEPKT4_lPKT5_lS7_PT6_PKS3_21rocsparse_index_base_b
                                        ; -- End function
	.section	.AMDGPU.csdata,"",@progbits
; Kernel info:
; codeLenInByte = 1076
; NumSgprs: 18
; NumVgprs: 17
; ScratchSize: 0
; MemoryBound: 0
; FloatMode: 240
; IeeeMode: 1
; LDSByteSize: 4096 bytes/workgroup (compile time only)
; SGPRBlocks: 2
; VGPRBlocks: 2
; NumSGPRsForWavesPerEU: 18
; NumVGPRsForWavesPerEU: 17
; Occupancy: 16
; WaveLimiterHint : 0
; COMPUTE_PGM_RSRC2:SCRATCH_EN: 0
; COMPUTE_PGM_RSRC2:USER_SGPR: 15
; COMPUTE_PGM_RSRC2:TRAP_HANDLER: 0
; COMPUTE_PGM_RSRC2:TGID_X_EN: 1
; COMPUTE_PGM_RSRC2:TGID_Y_EN: 0
; COMPUTE_PGM_RSRC2:TGID_Z_EN: 0
; COMPUTE_PGM_RSRC2:TIDIG_COMP_CNT: 0
	.section	.text._ZN9rocsparseL23sddmm_ell_sample_kernelILi16ELi32E21rocsparse_complex_numIfEiS2_EEvT2_S3_PKT3_lS3_PS4_PKS3_21rocsparse_index_base_,"axG",@progbits,_ZN9rocsparseL23sddmm_ell_sample_kernelILi16ELi32E21rocsparse_complex_numIfEiS2_EEvT2_S3_PKT3_lS3_PS4_PKS3_21rocsparse_index_base_,comdat
	.globl	_ZN9rocsparseL23sddmm_ell_sample_kernelILi16ELi32E21rocsparse_complex_numIfEiS2_EEvT2_S3_PKT3_lS3_PS4_PKS3_21rocsparse_index_base_ ; -- Begin function _ZN9rocsparseL23sddmm_ell_sample_kernelILi16ELi32E21rocsparse_complex_numIfEiS2_EEvT2_S3_PKT3_lS3_PS4_PKS3_21rocsparse_index_base_
	.p2align	8
	.type	_ZN9rocsparseL23sddmm_ell_sample_kernelILi16ELi32E21rocsparse_complex_numIfEiS2_EEvT2_S3_PKT3_lS3_PS4_PKS3_21rocsparse_index_base_,@function
_ZN9rocsparseL23sddmm_ell_sample_kernelILi16ELi32E21rocsparse_complex_numIfEiS2_EEvT2_S3_PKT3_lS3_PS4_PKS3_21rocsparse_index_base_: ; @_ZN9rocsparseL23sddmm_ell_sample_kernelILi16ELi32E21rocsparse_complex_numIfEiS2_EEvT2_S3_PKT3_lS3_PS4_PKS3_21rocsparse_index_base_
; %bb.0:
	s_load_b32 s2, s[0:1], 0x18
	v_lshrrev_b32_e32 v1, 5, v0
	s_delay_alu instid0(VALU_DEP_1) | instskip(SKIP_1) | instid1(VALU_DEP_1)
	v_lshl_or_b32 v1, s15, 4, v1
	s_waitcnt lgkmcnt(0)
	v_cmp_gt_u32_e32 vcc_lo, s2, v1
	s_and_saveexec_b32 s2, vcc_lo
	s_cbranch_execz .LBB18_6
; %bb.1:
	s_load_b64 s[2:3], s[0:1], 0x0
	v_and_b32_e32 v4, 31, v0
	s_waitcnt lgkmcnt(0)
	s_delay_alu instid0(VALU_DEP_1)
	v_cmp_gt_i32_e32 vcc_lo, s2, v4
	s_and_b32 exec_lo, exec_lo, vcc_lo
	s_cbranch_execz .LBB18_6
; %bb.2:
	s_clause 0x2
	s_load_b128 s[8:11], s[0:1], 0x8
	s_load_b128 s[4:7], s[0:1], 0x20
	s_load_b32 s1, s[0:1], 0x30
	v_and_b32_e32 v0, 31, v0
	v_mul_lo_u32 v5, v1, s2
	s_delay_alu instid0(VALU_DEP_2) | instskip(SKIP_1) | instid1(VALU_DEP_1)
	v_dual_mov_b32 v1, 0 :: v_dual_lshlrev_b32 v0, 3, v0
	s_waitcnt lgkmcnt(0)
	v_add_co_u32 v2, s0, s8, v0
	s_delay_alu instid0(VALU_DEP_1)
	v_add_co_ci_u32_e64 v3, null, s9, 0, s0
	s_lshl_b64 s[8:9], s[10:11], 3
	s_mov_b32 s10, 0
	s_set_inst_prefetch_distance 0x1
	s_branch .LBB18_4
	.p2align	6
.LBB18_3:                               ;   in Loop: Header=BB18_4 Depth=1
	s_or_b32 exec_lo, exec_lo, s0
	v_add_nc_u32_e32 v4, 32, v4
	v_add_co_u32 v2, s0, 0x100, v2
	s_delay_alu instid0(VALU_DEP_1) | instskip(NEXT) | instid1(VALU_DEP_3)
	v_add_co_ci_u32_e64 v3, s0, 0, v3, s0
	v_cmp_le_i32_e32 vcc_lo, s2, v4
	s_or_b32 s10, vcc_lo, s10
	s_delay_alu instid0(SALU_CYCLE_1)
	s_and_not1_b32 exec_lo, exec_lo, s10
	s_cbranch_execz .LBB18_6
.LBB18_4:                               ; =>This Inner Loop Header: Depth=1
	v_add_nc_u32_e32 v0, v5, v4
	s_delay_alu instid0(VALU_DEP_1) | instskip(NEXT) | instid1(VALU_DEP_1)
	v_lshlrev_b64 v[6:7], 2, v[0:1]
	v_add_co_u32 v6, vcc_lo, s6, v6
	s_delay_alu instid0(VALU_DEP_2) | instskip(SKIP_3) | instid1(VALU_DEP_1)
	v_add_co_ci_u32_e32 v7, vcc_lo, s7, v7, vcc_lo
	global_load_b32 v6, v[6:7], off
	s_waitcnt vmcnt(0)
	v_subrev_nc_u32_e32 v6, s1, v6
	v_cmp_lt_i32_e32 vcc_lo, -1, v6
	v_cmp_gt_i32_e64 s0, s3, v6
	s_delay_alu instid0(VALU_DEP_1) | instskip(NEXT) | instid1(SALU_CYCLE_1)
	s_and_b32 s11, vcc_lo, s0
	s_and_saveexec_b32 s0, s11
	s_cbranch_execz .LBB18_3
; %bb.5:                                ;   in Loop: Header=BB18_4 Depth=1
	v_mad_u64_u32 v[7:8], null, s8, v6, v[2:3]
	s_delay_alu instid0(VALU_DEP_1) | instskip(NEXT) | instid1(VALU_DEP_1)
	v_mad_u64_u32 v[9:10], null, s9, v6, v[8:9]
	v_mov_b32_e32 v8, v9
	global_load_b64 v[6:7], v[7:8], off
	v_lshlrev_b64 v[8:9], 3, v[0:1]
	s_delay_alu instid0(VALU_DEP_1) | instskip(NEXT) | instid1(VALU_DEP_2)
	v_add_co_u32 v8, vcc_lo, s4, v8
	v_add_co_ci_u32_e32 v9, vcc_lo, s5, v9, vcc_lo
	s_waitcnt vmcnt(0)
	global_store_b64 v[8:9], v[6:7], off
	s_branch .LBB18_3
.LBB18_6:
	s_set_inst_prefetch_distance 0x2
	s_nop 0
	s_sendmsg sendmsg(MSG_DEALLOC_VGPRS)
	s_endpgm
	.section	.rodata,"a",@progbits
	.p2align	6, 0x0
	.amdhsa_kernel _ZN9rocsparseL23sddmm_ell_sample_kernelILi16ELi32E21rocsparse_complex_numIfEiS2_EEvT2_S3_PKT3_lS3_PS4_PKS3_21rocsparse_index_base_
		.amdhsa_group_segment_fixed_size 0
		.amdhsa_private_segment_fixed_size 0
		.amdhsa_kernarg_size 52
		.amdhsa_user_sgpr_count 15
		.amdhsa_user_sgpr_dispatch_ptr 0
		.amdhsa_user_sgpr_queue_ptr 0
		.amdhsa_user_sgpr_kernarg_segment_ptr 1
		.amdhsa_user_sgpr_dispatch_id 0
		.amdhsa_user_sgpr_private_segment_size 0
		.amdhsa_wavefront_size32 1
		.amdhsa_uses_dynamic_stack 0
		.amdhsa_enable_private_segment 0
		.amdhsa_system_sgpr_workgroup_id_x 1
		.amdhsa_system_sgpr_workgroup_id_y 0
		.amdhsa_system_sgpr_workgroup_id_z 0
		.amdhsa_system_sgpr_workgroup_info 0
		.amdhsa_system_vgpr_workitem_id 0
		.amdhsa_next_free_vgpr 11
		.amdhsa_next_free_sgpr 16
		.amdhsa_reserve_vcc 1
		.amdhsa_float_round_mode_32 0
		.amdhsa_float_round_mode_16_64 0
		.amdhsa_float_denorm_mode_32 3
		.amdhsa_float_denorm_mode_16_64 3
		.amdhsa_dx10_clamp 1
		.amdhsa_ieee_mode 1
		.amdhsa_fp16_overflow 0
		.amdhsa_workgroup_processor_mode 1
		.amdhsa_memory_ordered 1
		.amdhsa_forward_progress 0
		.amdhsa_shared_vgpr_count 0
		.amdhsa_exception_fp_ieee_invalid_op 0
		.amdhsa_exception_fp_denorm_src 0
		.amdhsa_exception_fp_ieee_div_zero 0
		.amdhsa_exception_fp_ieee_overflow 0
		.amdhsa_exception_fp_ieee_underflow 0
		.amdhsa_exception_fp_ieee_inexact 0
		.amdhsa_exception_int_div_zero 0
	.end_amdhsa_kernel
	.section	.text._ZN9rocsparseL23sddmm_ell_sample_kernelILi16ELi32E21rocsparse_complex_numIfEiS2_EEvT2_S3_PKT3_lS3_PS4_PKS3_21rocsparse_index_base_,"axG",@progbits,_ZN9rocsparseL23sddmm_ell_sample_kernelILi16ELi32E21rocsparse_complex_numIfEiS2_EEvT2_S3_PKT3_lS3_PS4_PKS3_21rocsparse_index_base_,comdat
.Lfunc_end18:
	.size	_ZN9rocsparseL23sddmm_ell_sample_kernelILi16ELi32E21rocsparse_complex_numIfEiS2_EEvT2_S3_PKT3_lS3_PS4_PKS3_21rocsparse_index_base_, .Lfunc_end18-_ZN9rocsparseL23sddmm_ell_sample_kernelILi16ELi32E21rocsparse_complex_numIfEiS2_EEvT2_S3_PKT3_lS3_PS4_PKS3_21rocsparse_index_base_
                                        ; -- End function
	.section	.AMDGPU.csdata,"",@progbits
; Kernel info:
; codeLenInByte = 380
; NumSgprs: 18
; NumVgprs: 11
; ScratchSize: 0
; MemoryBound: 0
; FloatMode: 240
; IeeeMode: 1
; LDSByteSize: 0 bytes/workgroup (compile time only)
; SGPRBlocks: 2
; VGPRBlocks: 1
; NumSGPRsForWavesPerEU: 18
; NumVGPRsForWavesPerEU: 11
; Occupancy: 16
; WaveLimiterHint : 1
; COMPUTE_PGM_RSRC2:SCRATCH_EN: 0
; COMPUTE_PGM_RSRC2:USER_SGPR: 15
; COMPUTE_PGM_RSRC2:TRAP_HANDLER: 0
; COMPUTE_PGM_RSRC2:TGID_X_EN: 1
; COMPUTE_PGM_RSRC2:TGID_Y_EN: 0
; COMPUTE_PGM_RSRC2:TGID_Z_EN: 0
; COMPUTE_PGM_RSRC2:TIDIG_COMP_CNT: 0
	.section	.text._ZN9rocsparseL23sddmm_ell_sample_kernelILi16ELi64E21rocsparse_complex_numIfEiS2_EEvT2_S3_PKT3_lS3_PS4_PKS3_21rocsparse_index_base_,"axG",@progbits,_ZN9rocsparseL23sddmm_ell_sample_kernelILi16ELi64E21rocsparse_complex_numIfEiS2_EEvT2_S3_PKT3_lS3_PS4_PKS3_21rocsparse_index_base_,comdat
	.globl	_ZN9rocsparseL23sddmm_ell_sample_kernelILi16ELi64E21rocsparse_complex_numIfEiS2_EEvT2_S3_PKT3_lS3_PS4_PKS3_21rocsparse_index_base_ ; -- Begin function _ZN9rocsparseL23sddmm_ell_sample_kernelILi16ELi64E21rocsparse_complex_numIfEiS2_EEvT2_S3_PKT3_lS3_PS4_PKS3_21rocsparse_index_base_
	.p2align	8
	.type	_ZN9rocsparseL23sddmm_ell_sample_kernelILi16ELi64E21rocsparse_complex_numIfEiS2_EEvT2_S3_PKT3_lS3_PS4_PKS3_21rocsparse_index_base_,@function
_ZN9rocsparseL23sddmm_ell_sample_kernelILi16ELi64E21rocsparse_complex_numIfEiS2_EEvT2_S3_PKT3_lS3_PS4_PKS3_21rocsparse_index_base_: ; @_ZN9rocsparseL23sddmm_ell_sample_kernelILi16ELi64E21rocsparse_complex_numIfEiS2_EEvT2_S3_PKT3_lS3_PS4_PKS3_21rocsparse_index_base_
; %bb.0:
	s_load_b32 s2, s[0:1], 0x18
	v_lshrrev_b32_e32 v1, 6, v0
	s_delay_alu instid0(VALU_DEP_1) | instskip(SKIP_1) | instid1(VALU_DEP_1)
	v_lshl_or_b32 v1, s15, 4, v1
	s_waitcnt lgkmcnt(0)
	v_cmp_gt_u32_e32 vcc_lo, s2, v1
	s_and_saveexec_b32 s2, vcc_lo
	s_cbranch_execz .LBB19_6
; %bb.1:
	s_load_b64 s[2:3], s[0:1], 0x0
	v_and_b32_e32 v4, 63, v0
	s_waitcnt lgkmcnt(0)
	s_delay_alu instid0(VALU_DEP_1)
	v_cmp_gt_i32_e32 vcc_lo, s2, v4
	s_and_b32 exec_lo, exec_lo, vcc_lo
	s_cbranch_execz .LBB19_6
; %bb.2:
	s_clause 0x2
	s_load_b128 s[8:11], s[0:1], 0x8
	s_load_b128 s[4:7], s[0:1], 0x20
	s_load_b32 s1, s[0:1], 0x30
	v_and_b32_e32 v0, 63, v0
	v_mul_lo_u32 v5, v1, s2
	s_delay_alu instid0(VALU_DEP_2) | instskip(SKIP_1) | instid1(VALU_DEP_1)
	v_dual_mov_b32 v1, 0 :: v_dual_lshlrev_b32 v0, 3, v0
	s_waitcnt lgkmcnt(0)
	v_add_co_u32 v2, s0, s8, v0
	s_delay_alu instid0(VALU_DEP_1)
	v_add_co_ci_u32_e64 v3, null, s9, 0, s0
	s_lshl_b64 s[8:9], s[10:11], 3
	s_mov_b32 s10, 0
	s_set_inst_prefetch_distance 0x1
	s_branch .LBB19_4
	.p2align	6
.LBB19_3:                               ;   in Loop: Header=BB19_4 Depth=1
	s_or_b32 exec_lo, exec_lo, s0
	v_add_nc_u32_e32 v4, 64, v4
	v_add_co_u32 v2, s0, 0x200, v2
	s_delay_alu instid0(VALU_DEP_1) | instskip(NEXT) | instid1(VALU_DEP_3)
	v_add_co_ci_u32_e64 v3, s0, 0, v3, s0
	v_cmp_le_i32_e32 vcc_lo, s2, v4
	s_or_b32 s10, vcc_lo, s10
	s_delay_alu instid0(SALU_CYCLE_1)
	s_and_not1_b32 exec_lo, exec_lo, s10
	s_cbranch_execz .LBB19_6
.LBB19_4:                               ; =>This Inner Loop Header: Depth=1
	v_add_nc_u32_e32 v0, v5, v4
	s_delay_alu instid0(VALU_DEP_1) | instskip(NEXT) | instid1(VALU_DEP_1)
	v_lshlrev_b64 v[6:7], 2, v[0:1]
	v_add_co_u32 v6, vcc_lo, s6, v6
	s_delay_alu instid0(VALU_DEP_2) | instskip(SKIP_3) | instid1(VALU_DEP_1)
	v_add_co_ci_u32_e32 v7, vcc_lo, s7, v7, vcc_lo
	global_load_b32 v6, v[6:7], off
	s_waitcnt vmcnt(0)
	v_subrev_nc_u32_e32 v6, s1, v6
	v_cmp_lt_i32_e32 vcc_lo, -1, v6
	v_cmp_gt_i32_e64 s0, s3, v6
	s_delay_alu instid0(VALU_DEP_1) | instskip(NEXT) | instid1(SALU_CYCLE_1)
	s_and_b32 s11, vcc_lo, s0
	s_and_saveexec_b32 s0, s11
	s_cbranch_execz .LBB19_3
; %bb.5:                                ;   in Loop: Header=BB19_4 Depth=1
	v_mad_u64_u32 v[7:8], null, s8, v6, v[2:3]
	s_delay_alu instid0(VALU_DEP_1) | instskip(NEXT) | instid1(VALU_DEP_1)
	v_mad_u64_u32 v[9:10], null, s9, v6, v[8:9]
	v_mov_b32_e32 v8, v9
	global_load_b64 v[6:7], v[7:8], off
	v_lshlrev_b64 v[8:9], 3, v[0:1]
	s_delay_alu instid0(VALU_DEP_1) | instskip(NEXT) | instid1(VALU_DEP_2)
	v_add_co_u32 v8, vcc_lo, s4, v8
	v_add_co_ci_u32_e32 v9, vcc_lo, s5, v9, vcc_lo
	s_waitcnt vmcnt(0)
	global_store_b64 v[8:9], v[6:7], off
	s_branch .LBB19_3
.LBB19_6:
	s_set_inst_prefetch_distance 0x2
	s_nop 0
	s_sendmsg sendmsg(MSG_DEALLOC_VGPRS)
	s_endpgm
	.section	.rodata,"a",@progbits
	.p2align	6, 0x0
	.amdhsa_kernel _ZN9rocsparseL23sddmm_ell_sample_kernelILi16ELi64E21rocsparse_complex_numIfEiS2_EEvT2_S3_PKT3_lS3_PS4_PKS3_21rocsparse_index_base_
		.amdhsa_group_segment_fixed_size 0
		.amdhsa_private_segment_fixed_size 0
		.amdhsa_kernarg_size 52
		.amdhsa_user_sgpr_count 15
		.amdhsa_user_sgpr_dispatch_ptr 0
		.amdhsa_user_sgpr_queue_ptr 0
		.amdhsa_user_sgpr_kernarg_segment_ptr 1
		.amdhsa_user_sgpr_dispatch_id 0
		.amdhsa_user_sgpr_private_segment_size 0
		.amdhsa_wavefront_size32 1
		.amdhsa_uses_dynamic_stack 0
		.amdhsa_enable_private_segment 0
		.amdhsa_system_sgpr_workgroup_id_x 1
		.amdhsa_system_sgpr_workgroup_id_y 0
		.amdhsa_system_sgpr_workgroup_id_z 0
		.amdhsa_system_sgpr_workgroup_info 0
		.amdhsa_system_vgpr_workitem_id 0
		.amdhsa_next_free_vgpr 11
		.amdhsa_next_free_sgpr 16
		.amdhsa_reserve_vcc 1
		.amdhsa_float_round_mode_32 0
		.amdhsa_float_round_mode_16_64 0
		.amdhsa_float_denorm_mode_32 3
		.amdhsa_float_denorm_mode_16_64 3
		.amdhsa_dx10_clamp 1
		.amdhsa_ieee_mode 1
		.amdhsa_fp16_overflow 0
		.amdhsa_workgroup_processor_mode 1
		.amdhsa_memory_ordered 1
		.amdhsa_forward_progress 0
		.amdhsa_shared_vgpr_count 0
		.amdhsa_exception_fp_ieee_invalid_op 0
		.amdhsa_exception_fp_denorm_src 0
		.amdhsa_exception_fp_ieee_div_zero 0
		.amdhsa_exception_fp_ieee_overflow 0
		.amdhsa_exception_fp_ieee_underflow 0
		.amdhsa_exception_fp_ieee_inexact 0
		.amdhsa_exception_int_div_zero 0
	.end_amdhsa_kernel
	.section	.text._ZN9rocsparseL23sddmm_ell_sample_kernelILi16ELi64E21rocsparse_complex_numIfEiS2_EEvT2_S3_PKT3_lS3_PS4_PKS3_21rocsparse_index_base_,"axG",@progbits,_ZN9rocsparseL23sddmm_ell_sample_kernelILi16ELi64E21rocsparse_complex_numIfEiS2_EEvT2_S3_PKT3_lS3_PS4_PKS3_21rocsparse_index_base_,comdat
.Lfunc_end19:
	.size	_ZN9rocsparseL23sddmm_ell_sample_kernelILi16ELi64E21rocsparse_complex_numIfEiS2_EEvT2_S3_PKT3_lS3_PS4_PKS3_21rocsparse_index_base_, .Lfunc_end19-_ZN9rocsparseL23sddmm_ell_sample_kernelILi16ELi64E21rocsparse_complex_numIfEiS2_EEvT2_S3_PKT3_lS3_PS4_PKS3_21rocsparse_index_base_
                                        ; -- End function
	.section	.AMDGPU.csdata,"",@progbits
; Kernel info:
; codeLenInByte = 380
; NumSgprs: 18
; NumVgprs: 11
; ScratchSize: 0
; MemoryBound: 0
; FloatMode: 240
; IeeeMode: 1
; LDSByteSize: 0 bytes/workgroup (compile time only)
; SGPRBlocks: 2
; VGPRBlocks: 1
; NumSGPRsForWavesPerEU: 18
; NumVGPRsForWavesPerEU: 11
; Occupancy: 16
; WaveLimiterHint : 1
; COMPUTE_PGM_RSRC2:SCRATCH_EN: 0
; COMPUTE_PGM_RSRC2:USER_SGPR: 15
; COMPUTE_PGM_RSRC2:TRAP_HANDLER: 0
; COMPUTE_PGM_RSRC2:TGID_X_EN: 1
; COMPUTE_PGM_RSRC2:TGID_Y_EN: 0
; COMPUTE_PGM_RSRC2:TGID_Z_EN: 0
; COMPUTE_PGM_RSRC2:TIDIG_COMP_CNT: 0
	.section	.text._ZN9rocsparseL16sddmm_ell_kernelILi512ELi8E21rocsparse_complex_numIfEiiS2_S2_S2_EEv20rocsparse_operation_S3_16rocsparse_order_S4_T3_S5_S5_T2_NS_24const_host_device_scalarIT1_EEPKT4_lPKT5_lS9_PT6_PKS5_21rocsparse_index_base_b,"axG",@progbits,_ZN9rocsparseL16sddmm_ell_kernelILi512ELi8E21rocsparse_complex_numIfEiiS2_S2_S2_EEv20rocsparse_operation_S3_16rocsparse_order_S4_T3_S5_S5_T2_NS_24const_host_device_scalarIT1_EEPKT4_lPKT5_lS9_PT6_PKS5_21rocsparse_index_base_b,comdat
	.globl	_ZN9rocsparseL16sddmm_ell_kernelILi512ELi8E21rocsparse_complex_numIfEiiS2_S2_S2_EEv20rocsparse_operation_S3_16rocsparse_order_S4_T3_S5_S5_T2_NS_24const_host_device_scalarIT1_EEPKT4_lPKT5_lS9_PT6_PKS5_21rocsparse_index_base_b ; -- Begin function _ZN9rocsparseL16sddmm_ell_kernelILi512ELi8E21rocsparse_complex_numIfEiiS2_S2_S2_EEv20rocsparse_operation_S3_16rocsparse_order_S4_T3_S5_S5_T2_NS_24const_host_device_scalarIT1_EEPKT4_lPKT5_lS9_PT6_PKS5_21rocsparse_index_base_b
	.p2align	8
	.type	_ZN9rocsparseL16sddmm_ell_kernelILi512ELi8E21rocsparse_complex_numIfEiiS2_S2_S2_EEv20rocsparse_operation_S3_16rocsparse_order_S4_T3_S5_S5_T2_NS_24const_host_device_scalarIT1_EEPKT4_lPKT5_lS9_PT6_PKS5_21rocsparse_index_base_b,@function
_ZN9rocsparseL16sddmm_ell_kernelILi512ELi8E21rocsparse_complex_numIfEiiS2_S2_S2_EEv20rocsparse_operation_S3_16rocsparse_order_S4_T3_S5_S5_T2_NS_24const_host_device_scalarIT1_EEPKT4_lPKT5_lS9_PT6_PKS5_21rocsparse_index_base_b: ; @_ZN9rocsparseL16sddmm_ell_kernelILi512ELi8E21rocsparse_complex_numIfEiiS2_S2_S2_EEv20rocsparse_operation_S3_16rocsparse_order_S4_T3_S5_S5_T2_NS_24const_host_device_scalarIT1_EEPKT4_lPKT5_lS9_PT6_PKS5_21rocsparse_index_base_b
; %bb.0:
	s_clause 0x1
	s_load_b64 s[8:9], s[0:1], 0x60
	s_load_b64 s[2:3], s[0:1], 0x20
	s_waitcnt lgkmcnt(0)
	s_bitcmp1_b32 s9, 0
	v_mov_b32_e32 v9, s2
	s_cselect_b32 s4, -1, 0
	s_delay_alu instid0(SALU_CYCLE_1)
	s_and_b32 vcc_lo, exec_lo, s4
	s_xor_b32 s9, s4, -1
	s_cbranch_vccnz .LBB20_2
; %bb.1:
	v_dual_mov_b32 v1, s2 :: v_dual_mov_b32 v2, s3
	flat_load_b32 v9, v[1:2]
.LBB20_2:
	s_load_b128 s[4:7], s[0:1], 0x40
	v_cndmask_b32_e64 v1, 0, 1, s9
	v_mov_b32_e32 v10, s3
	s_and_not1_b32 vcc_lo, exec_lo, s9
	s_cbranch_vccz .LBB20_15
; %bb.3:
	s_delay_alu instid0(VALU_DEP_2)
	v_cmp_ne_u32_e32 vcc_lo, 1, v1
	s_waitcnt lgkmcnt(0)
	v_mov_b32_e32 v11, s6
	s_cbranch_vccz .LBB20_16
.LBB20_4:
	v_cmp_ne_u32_e32 vcc_lo, 1, v1
	v_mov_b32_e32 v12, s7
	s_cbranch_vccnz .LBB20_6
.LBB20_5:
	v_dual_mov_b32 v1, s6 :: v_dual_mov_b32 v2, s7
	flat_load_b32 v12, v[1:2] offset:4
.LBB20_6:
	s_waitcnt vmcnt(0)
	v_or_b32_e32 v1, v9, v10
	s_mov_b32 s2, -1
	s_mov_b32 s3, exec_lo
	s_delay_alu instid0(VALU_DEP_1) | instskip(NEXT) | instid1(VALU_DEP_1)
	v_and_b32_e32 v1, 0x7fffffff, v1
	v_cmpx_eq_u32_e32 0, v1
	s_cbranch_execz .LBB20_8
; %bb.7:
	s_waitcnt lgkmcnt(0)
	v_cmp_neq_f32_e32 vcc_lo, 1.0, v11
	v_cmp_neq_f32_e64 s2, 0, v12
	s_delay_alu instid0(VALU_DEP_1) | instskip(NEXT) | instid1(SALU_CYCLE_1)
	s_or_b32 s2, vcc_lo, s2
	s_or_not1_b32 s2, s2, exec_lo
.LBB20_8:
	s_or_b32 exec_lo, exec_lo, s3
	s_and_saveexec_b32 s3, s2
	s_cbranch_execz .LBB20_41
; %bb.9:
	s_load_b64 s[2:3], s[0:1], 0x18
	v_lshrrev_b32_e32 v13, 3, v0
	s_delay_alu instid0(VALU_DEP_1) | instskip(SKIP_1) | instid1(VALU_DEP_1)
	v_lshl_or_b32 v1, s15, 6, v13
	s_waitcnt lgkmcnt(0)
	v_cmp_gt_i32_e32 vcc_lo, s3, v1
	s_and_b32 exec_lo, exec_lo, vcc_lo
	s_cbranch_execz .LBB20_41
; %bb.10:
	s_load_b64 s[6:7], s[0:1], 0x58
	v_ashrrev_i32_e32 v2, 31, v1
	s_delay_alu instid0(VALU_DEP_1) | instskip(SKIP_1) | instid1(VALU_DEP_1)
	v_lshlrev_b64 v[3:4], 2, v[1:2]
	s_waitcnt lgkmcnt(0)
	v_add_co_u32 v3, vcc_lo, s6, v3
	s_delay_alu instid0(VALU_DEP_2) | instskip(SKIP_4) | instid1(VALU_DEP_1)
	v_add_co_ci_u32_e32 v4, vcc_lo, s7, v4, vcc_lo
	s_mov_b32 s7, -1
	global_load_b32 v3, v[3:4], off
	s_waitcnt vmcnt(0)
	v_subrev_nc_u32_e32 v3, s8, v3
	v_cmp_lt_i32_e32 vcc_lo, -1, v3
	s_and_b32 exec_lo, exec_lo, vcc_lo
	s_cbranch_execz .LBB20_41
; %bb.11:
	s_clause 0x1
	s_load_b128 s[8:11], s[0:1], 0x0
	s_load_b32 s12, s[0:1], 0x10
	v_sub_nc_u32_e32 v6, 0, v1
	s_waitcnt lgkmcnt(0)
	s_cmp_eq_u32 s10, 1
	s_cselect_b32 s3, -1, 0
	s_cmpk_eq_i32 s8, 0x6f
	s_cselect_b32 s14, -1, 0
	s_cmpk_lg_i32 s8, 0x6f
	s_cselect_b32 s6, -1, 0
	s_abs_i32 s8, s12
	s_delay_alu instid0(SALU_CYCLE_1) | instskip(SKIP_2) | instid1(VALU_DEP_1)
	v_cvt_f32_u32_e32 v4, s8
	s_sub_i32 s12, 0, s8
	s_cmp_lg_u32 s10, 1
	v_rcp_iflag_f32_e32 v4, v4
	s_waitcnt_depctr 0xfff
	v_mul_f32_e32 v4, 0x4f7ffffe, v4
	s_delay_alu instid0(VALU_DEP_1) | instskip(NEXT) | instid1(VALU_DEP_1)
	v_cvt_u32_f32_e32 v4, v4
	v_mul_lo_u32 v5, s12, v4
	s_load_b64 s[12:13], s[0:1], 0x30
	s_delay_alu instid0(VALU_DEP_1) | instskip(NEXT) | instid1(VALU_DEP_1)
	v_mul_hi_u32 v5, v4, v5
	v_add_nc_u32_e32 v4, v4, v5
	v_max_i32_e32 v5, v1, v6
	s_delay_alu instid0(VALU_DEP_1) | instskip(NEXT) | instid1(VALU_DEP_1)
	v_mul_hi_u32 v4, v5, v4
	v_mul_lo_u32 v4, v4, s8
	s_delay_alu instid0(VALU_DEP_1) | instskip(NEXT) | instid1(VALU_DEP_1)
	v_sub_nc_u32_e32 v4, v5, v4
	v_subrev_nc_u32_e32 v5, s8, v4
	v_cmp_le_u32_e32 vcc_lo, s8, v4
	s_delay_alu instid0(VALU_DEP_2) | instskip(NEXT) | instid1(VALU_DEP_1)
	v_cndmask_b32_e32 v4, v4, v5, vcc_lo
	v_subrev_nc_u32_e32 v5, s8, v4
	v_cmp_le_u32_e32 vcc_lo, s8, v4
	s_delay_alu instid0(VALU_DEP_2) | instskip(NEXT) | instid1(VALU_DEP_1)
	v_cndmask_b32_e32 v4, v4, v5, vcc_lo
	v_xor_b32_e32 v4, v4, v2
	s_delay_alu instid0(VALU_DEP_1) | instskip(NEXT) | instid1(VALU_DEP_1)
	v_sub_nc_u32_e32 v7, v4, v2
	v_ashrrev_i32_e32 v8, 31, v7
	s_cbranch_scc0 .LBB20_17
; %bb.12:
	s_delay_alu instid0(VALU_DEP_1)
	v_dual_mov_b32 v5, v7 :: v_dual_mov_b32 v6, v8
	s_and_not1_b32 vcc_lo, exec_lo, s14
	s_cbranch_vccnz .LBB20_14
; %bb.13:
	s_waitcnt lgkmcnt(0)
	v_mul_lo_u32 v4, v8, s12
	v_mul_lo_u32 v14, v7, s13
	v_mad_u64_u32 v[5:6], null, v7, s12, 0
	s_delay_alu instid0(VALU_DEP_1)
	v_add3_u32 v6, v6, v14, v4
.LBB20_14:
	s_cbranch_execz .LBB20_18
	s_branch .LBB20_21
.LBB20_15:
	v_dual_mov_b32 v2, s2 :: v_dual_mov_b32 v3, s3
	flat_load_b32 v10, v[2:3] offset:4
	v_cmp_ne_u32_e32 vcc_lo, 1, v1
	s_waitcnt lgkmcnt(0)
	v_mov_b32_e32 v11, s6
	s_cbranch_vccnz .LBB20_4
.LBB20_16:
	v_dual_mov_b32 v2, s6 :: v_dual_mov_b32 v3, s7
	flat_load_b32 v11, v[2:3]
	v_cmp_ne_u32_e32 vcc_lo, 1, v1
	v_mov_b32_e32 v12, s7
	s_cbranch_vccz .LBB20_5
	s_branch .LBB20_6
.LBB20_17:
                                        ; implicit-def: $vgpr5_vgpr6
	s_and_not1_b32 vcc_lo, exec_lo, s7
	s_cbranch_vccnz .LBB20_21
.LBB20_18:
	s_and_not1_b32 vcc_lo, exec_lo, s6
	s_cbranch_vccnz .LBB20_20
; %bb.19:
	s_waitcnt lgkmcnt(0)
	v_mul_lo_u32 v6, v8, s12
	v_mul_lo_u32 v8, v7, s13
	v_mad_u64_u32 v[4:5], null, v7, s12, 0
	s_delay_alu instid0(VALU_DEP_1) | instskip(NEXT) | instid1(VALU_DEP_1)
	v_add3_u32 v5, v5, v8, v6
	v_dual_mov_b32 v8, v5 :: v_dual_mov_b32 v7, v4
.LBB20_20:
	s_delay_alu instid0(VALU_DEP_1)
	v_dual_mov_b32 v5, v7 :: v_dual_mov_b32 v6, v8
.LBB20_21:
	s_cmp_eq_u32 s11, 1
	v_mov_b32_e32 v4, 0
	s_cselect_b32 s8, -1, 0
	s_cmpk_eq_i32 s9, 0x6f
	s_cselect_b32 s15, -1, 0
	s_cmpk_lg_i32 s9, 0x6f
	s_cselect_b32 s6, -1, 0
	s_cmp_lg_u32 s11, 1
	s_cbranch_scc0 .LBB20_25
; %bb.22:
	v_dual_mov_b32 v8, v4 :: v_dual_mov_b32 v7, v3
	s_and_not1_b32 vcc_lo, exec_lo, s6
	s_cbranch_vccnz .LBB20_24
; %bb.23:
	v_mad_u64_u32 v[7:8], null, v3, s4, 0
	s_delay_alu instid0(VALU_DEP_1) | instskip(NEXT) | instid1(VALU_DEP_1)
	v_mad_u64_u32 v[14:15], null, v3, s5, v[8:9]
	v_mov_b32_e32 v8, v14
.LBB20_24:
	s_cbranch_execz .LBB20_26
	s_branch .LBB20_29
.LBB20_25:
                                        ; implicit-def: $vgpr7_vgpr8
.LBB20_26:
	s_and_not1_b32 vcc_lo, exec_lo, s15
	s_cbranch_vccnz .LBB20_28
; %bb.27:
	v_mad_u64_u32 v[7:8], null, v3, s4, 0
	s_delay_alu instid0(VALU_DEP_1) | instskip(NEXT) | instid1(VALU_DEP_1)
	v_mov_b32_e32 v4, v8
	v_mad_u64_u32 v[14:15], null, v3, s5, v[4:5]
	s_delay_alu instid0(VALU_DEP_1) | instskip(NEXT) | instid1(VALU_DEP_1)
	v_mov_b32_e32 v8, v14
	v_dual_mov_b32 v3, v7 :: v_dual_mov_b32 v4, v8
.LBB20_28:
	s_delay_alu instid0(VALU_DEP_1)
	v_dual_mov_b32 v8, v4 :: v_dual_mov_b32 v7, v3
.LBB20_29:
	s_load_b64 s[6:7], s[0:1], 0x50
	v_dual_mov_b32 v3, 0 :: v_dual_and_b32 v14, 7, v0
	v_mov_b32_e32 v4, 0
	s_mov_b32 s11, 0
	s_mov_b32 s10, exec_lo
	s_delay_alu instid0(VALU_DEP_2)
	v_cmpx_gt_i32_e64 s2, v14
	s_cbranch_execz .LBB20_33
; %bb.30:
	s_xor_b32 s3, s14, s3
	v_and_b32_e32 v19, 7, v0
	s_and_b32 s3, s3, exec_lo
	s_waitcnt lgkmcnt(0)
	s_cselect_b32 s13, 0, s13
	s_cselect_b32 s12, 1, s12
	s_xor_b32 s3, s15, s8
	v_lshlrev_b64 v[7:8], 3, v[7:8]
	s_and_b32 s3, s3, exec_lo
	s_cselect_b32 s8, s4, 1
	s_cselect_b32 s9, s5, 0
	v_mad_u64_u32 v[3:4], null, s8, v19, 0
	s_clause 0x1
	s_load_b64 s[4:5], s[0:1], 0x38
	s_load_b64 s[0:1], s[0:1], 0x28
	s_delay_alu instid0(VALU_DEP_1) | instskip(SKIP_1) | instid1(VALU_DEP_1)
	v_mov_b32_e32 v0, v4
	v_mad_u64_u32 v[15:16], null, s12, v19, 0
	v_mov_b32_e32 v4, v16
	s_delay_alu instid0(VALU_DEP_3) | instskip(SKIP_2) | instid1(VALU_DEP_3)
	v_mad_u64_u32 v[16:17], null, s9, v19, v[0:1]
	v_mov_b32_e32 v0, v14
	s_lshl_b64 s[8:9], s[8:9], 6
	v_mad_u64_u32 v[17:18], null, s13, v19, v[4:5]
	v_lshlrev_b64 v[5:6], 3, v[5:6]
	s_delay_alu instid0(VALU_DEP_4) | instskip(NEXT) | instid1(VALU_DEP_3)
	v_mov_b32_e32 v4, v16
	v_mov_b32_e32 v16, v17
	s_delay_alu instid0(VALU_DEP_2) | instskip(SKIP_1) | instid1(VALU_DEP_3)
	v_lshlrev_b64 v[17:18], 3, v[3:4]
	v_mov_b32_e32 v4, 0
	v_lshlrev_b64 v[15:16], 3, v[15:16]
	s_delay_alu instid0(VALU_DEP_3) | instskip(NEXT) | instid1(VALU_DEP_4)
	v_add_co_u32 v3, vcc_lo, v17, v7
	v_add_co_ci_u32_e32 v7, vcc_lo, v18, v8, vcc_lo
	s_delay_alu instid0(VALU_DEP_3) | instskip(NEXT) | instid1(VALU_DEP_4)
	v_add_co_u32 v5, vcc_lo, v15, v5
	v_add_co_ci_u32_e32 v6, vcc_lo, v16, v6, vcc_lo
	s_waitcnt lgkmcnt(0)
	v_add_co_u32 v3, vcc_lo, v3, s4
	v_add_co_ci_u32_e32 v8, vcc_lo, s5, v7, vcc_lo
	v_add_co_u32 v5, vcc_lo, s0, v5
	v_add_co_ci_u32_e32 v6, vcc_lo, s1, v6, vcc_lo
	s_delay_alu instid0(VALU_DEP_4)
	v_add_co_u32 v7, vcc_lo, v3, 4
	v_mov_b32_e32 v3, v4
	v_add_co_ci_u32_e32 v8, vcc_lo, 0, v8, vcc_lo
	s_lshl_b64 s[4:5], s[12:13], 6
	.p2align	6
.LBB20_31:                              ; =>This Inner Loop Header: Depth=1
	global_load_b64 v[15:16], v[5:6], off
	global_load_b64 v[17:18], v[7:8], off offset:-4
	v_add_co_u32 v5, vcc_lo, v5, s4
	v_add_co_ci_u32_e32 v6, vcc_lo, s5, v6, vcc_lo
	v_add_co_u32 v7, vcc_lo, v7, s8
	v_add_co_ci_u32_e32 v8, vcc_lo, s9, v8, vcc_lo
	s_waitcnt vmcnt(0)
	v_mul_f32_e64 v19, v18, -v16
	v_mul_f32_e32 v18, v18, v15
	s_delay_alu instid0(VALU_DEP_2) | instskip(NEXT) | instid1(VALU_DEP_2)
	v_dual_fmac_f32 v19, v15, v17 :: v_dual_add_nc_u32 v0, 8, v0
	v_fmac_f32_e32 v18, v16, v17
	s_delay_alu instid0(VALU_DEP_2) | instskip(NEXT) | instid1(VALU_DEP_2)
	v_cmp_le_i32_e64 s0, s2, v0
	v_dual_add_f32 v3, v3, v19 :: v_dual_add_f32 v4, v4, v18
	s_delay_alu instid0(VALU_DEP_2) | instskip(NEXT) | instid1(SALU_CYCLE_1)
	s_or_b32 s11, s0, s11
	s_and_not1_b32 exec_lo, exec_lo, s11
	s_cbranch_execnz .LBB20_31
; %bb.32:
	s_or_b32 exec_lo, exec_lo, s11
.LBB20_33:
	s_delay_alu instid0(SALU_CYCLE_1) | instskip(SKIP_2) | instid1(VALU_DEP_1)
	s_or_b32 exec_lo, exec_lo, s10
	v_lshlrev_b32_e32 v0, 3, v14
	s_mov_b32 s0, exec_lo
	v_lshl_or_b32 v0, v13, 6, v0
	ds_store_b64 v0, v[3:4]
	s_waitcnt lgkmcnt(0)
	s_barrier
	buffer_gl0_inv
	v_cmpx_gt_u32_e32 4, v14
	s_cbranch_execz .LBB20_35
; %bb.34:
	ds_load_2addr_b64 v[3:6], v0 offset1:4
	s_waitcnt lgkmcnt(0)
	v_dual_add_f32 v3, v5, v3 :: v_dual_add_f32 v4, v6, v4
	ds_store_b64 v0, v[3:4]
.LBB20_35:
	s_or_b32 exec_lo, exec_lo, s0
	s_delay_alu instid0(SALU_CYCLE_1)
	s_mov_b32 s0, exec_lo
	s_waitcnt lgkmcnt(0)
	s_barrier
	buffer_gl0_inv
	v_cmpx_gt_u32_e32 2, v14
	s_cbranch_execz .LBB20_37
; %bb.36:
	ds_load_2addr_b64 v[3:6], v0 offset1:2
	s_waitcnt lgkmcnt(0)
	v_dual_add_f32 v3, v5, v3 :: v_dual_add_f32 v4, v6, v4
	ds_store_b64 v0, v[3:4]
.LBB20_37:
	s_or_b32 exec_lo, exec_lo, s0
	v_cmp_eq_u32_e32 vcc_lo, 0, v14
	v_lshlrev_b32_e32 v3, 6, v13
	s_waitcnt lgkmcnt(0)
	s_barrier
	buffer_gl0_inv
	s_and_saveexec_b32 s0, vcc_lo
	s_cbranch_execz .LBB20_39
; %bb.38:
	ds_load_b64 v[4:5], v3 offset:8
	ds_load_b64 v[6:7], v0
	s_waitcnt lgkmcnt(0)
	v_dual_add_f32 v4, v4, v6 :: v_dual_add_f32 v5, v5, v7
	ds_store_b64 v0, v[4:5]
.LBB20_39:
	s_or_b32 exec_lo, exec_lo, s0
	s_waitcnt lgkmcnt(0)
	s_barrier
	buffer_gl0_inv
	s_and_b32 exec_lo, exec_lo, vcc_lo
	s_cbranch_execz .LBB20_41
; %bb.40:
	v_lshlrev_b64 v[0:1], 3, v[1:2]
	ds_load_b64 v[2:3], v3
	v_add_co_u32 v0, vcc_lo, s6, v0
	v_add_co_ci_u32_e32 v1, vcc_lo, s7, v1, vcc_lo
	global_load_b64 v[4:5], v[0:1], off
	s_waitcnt lgkmcnt(0)
	v_mul_f32_e64 v6, v3, -v10
	s_waitcnt vmcnt(0)
	v_dual_mul_f32 v3, v3, v9 :: v_dual_mul_f32 v8, v12, v4
	v_mul_f32_e64 v7, v12, -v5
	s_delay_alu instid0(VALU_DEP_3) | instskip(NEXT) | instid1(VALU_DEP_3)
	v_fmac_f32_e32 v6, v9, v2
	v_dual_fmac_f32 v3, v10, v2 :: v_dual_fmac_f32 v8, v5, v11
	s_delay_alu instid0(VALU_DEP_3) | instskip(NEXT) | instid1(VALU_DEP_2)
	v_fmac_f32_e32 v7, v4, v11
	v_add_f32_e32 v3, v8, v3
	s_delay_alu instid0(VALU_DEP_2)
	v_add_f32_e32 v2, v6, v7
	global_store_b64 v[0:1], v[2:3], off
.LBB20_41:
	s_nop 0
	s_sendmsg sendmsg(MSG_DEALLOC_VGPRS)
	s_endpgm
	.section	.rodata,"a",@progbits
	.p2align	6, 0x0
	.amdhsa_kernel _ZN9rocsparseL16sddmm_ell_kernelILi512ELi8E21rocsparse_complex_numIfEiiS2_S2_S2_EEv20rocsparse_operation_S3_16rocsparse_order_S4_T3_S5_S5_T2_NS_24const_host_device_scalarIT1_EEPKT4_lPKT5_lS9_PT6_PKS5_21rocsparse_index_base_b
		.amdhsa_group_segment_fixed_size 4096
		.amdhsa_private_segment_fixed_size 0
		.amdhsa_kernarg_size 104
		.amdhsa_user_sgpr_count 15
		.amdhsa_user_sgpr_dispatch_ptr 0
		.amdhsa_user_sgpr_queue_ptr 0
		.amdhsa_user_sgpr_kernarg_segment_ptr 1
		.amdhsa_user_sgpr_dispatch_id 0
		.amdhsa_user_sgpr_private_segment_size 0
		.amdhsa_wavefront_size32 1
		.amdhsa_uses_dynamic_stack 0
		.amdhsa_enable_private_segment 0
		.amdhsa_system_sgpr_workgroup_id_x 1
		.amdhsa_system_sgpr_workgroup_id_y 0
		.amdhsa_system_sgpr_workgroup_id_z 0
		.amdhsa_system_sgpr_workgroup_info 0
		.amdhsa_system_vgpr_workitem_id 0
		.amdhsa_next_free_vgpr 20
		.amdhsa_next_free_sgpr 16
		.amdhsa_reserve_vcc 1
		.amdhsa_float_round_mode_32 0
		.amdhsa_float_round_mode_16_64 0
		.amdhsa_float_denorm_mode_32 3
		.amdhsa_float_denorm_mode_16_64 3
		.amdhsa_dx10_clamp 1
		.amdhsa_ieee_mode 1
		.amdhsa_fp16_overflow 0
		.amdhsa_workgroup_processor_mode 1
		.amdhsa_memory_ordered 1
		.amdhsa_forward_progress 0
		.amdhsa_shared_vgpr_count 0
		.amdhsa_exception_fp_ieee_invalid_op 0
		.amdhsa_exception_fp_denorm_src 0
		.amdhsa_exception_fp_ieee_div_zero 0
		.amdhsa_exception_fp_ieee_overflow 0
		.amdhsa_exception_fp_ieee_underflow 0
		.amdhsa_exception_fp_ieee_inexact 0
		.amdhsa_exception_int_div_zero 0
	.end_amdhsa_kernel
	.section	.text._ZN9rocsparseL16sddmm_ell_kernelILi512ELi8E21rocsparse_complex_numIfEiiS2_S2_S2_EEv20rocsparse_operation_S3_16rocsparse_order_S4_T3_S5_S5_T2_NS_24const_host_device_scalarIT1_EEPKT4_lPKT5_lS9_PT6_PKS5_21rocsparse_index_base_b,"axG",@progbits,_ZN9rocsparseL16sddmm_ell_kernelILi512ELi8E21rocsparse_complex_numIfEiiS2_S2_S2_EEv20rocsparse_operation_S3_16rocsparse_order_S4_T3_S5_S5_T2_NS_24const_host_device_scalarIT1_EEPKT4_lPKT5_lS9_PT6_PKS5_21rocsparse_index_base_b,comdat
.Lfunc_end20:
	.size	_ZN9rocsparseL16sddmm_ell_kernelILi512ELi8E21rocsparse_complex_numIfEiiS2_S2_S2_EEv20rocsparse_operation_S3_16rocsparse_order_S4_T3_S5_S5_T2_NS_24const_host_device_scalarIT1_EEPKT4_lPKT5_lS9_PT6_PKS5_21rocsparse_index_base_b, .Lfunc_end20-_ZN9rocsparseL16sddmm_ell_kernelILi512ELi8E21rocsparse_complex_numIfEiiS2_S2_S2_EEv20rocsparse_operation_S3_16rocsparse_order_S4_T3_S5_S5_T2_NS_24const_host_device_scalarIT1_EEPKT4_lPKT5_lS9_PT6_PKS5_21rocsparse_index_base_b
                                        ; -- End function
	.section	.AMDGPU.csdata,"",@progbits
; Kernel info:
; codeLenInByte = 1680
; NumSgprs: 18
; NumVgprs: 20
; ScratchSize: 0
; MemoryBound: 0
; FloatMode: 240
; IeeeMode: 1
; LDSByteSize: 4096 bytes/workgroup (compile time only)
; SGPRBlocks: 2
; VGPRBlocks: 2
; NumSGPRsForWavesPerEU: 18
; NumVGPRsForWavesPerEU: 20
; Occupancy: 16
; WaveLimiterHint : 0
; COMPUTE_PGM_RSRC2:SCRATCH_EN: 0
; COMPUTE_PGM_RSRC2:USER_SGPR: 15
; COMPUTE_PGM_RSRC2:TRAP_HANDLER: 0
; COMPUTE_PGM_RSRC2:TGID_X_EN: 1
; COMPUTE_PGM_RSRC2:TGID_Y_EN: 0
; COMPUTE_PGM_RSRC2:TGID_Z_EN: 0
; COMPUTE_PGM_RSRC2:TIDIG_COMP_CNT: 0
	.section	.text._ZN9rocsparseL16sddmm_ell_kernelILi512ELi4E21rocsparse_complex_numIfEiiS2_S2_S2_EEv20rocsparse_operation_S3_16rocsparse_order_S4_T3_S5_S5_T2_NS_24const_host_device_scalarIT1_EEPKT4_lPKT5_lS9_PT6_PKS5_21rocsparse_index_base_b,"axG",@progbits,_ZN9rocsparseL16sddmm_ell_kernelILi512ELi4E21rocsparse_complex_numIfEiiS2_S2_S2_EEv20rocsparse_operation_S3_16rocsparse_order_S4_T3_S5_S5_T2_NS_24const_host_device_scalarIT1_EEPKT4_lPKT5_lS9_PT6_PKS5_21rocsparse_index_base_b,comdat
	.globl	_ZN9rocsparseL16sddmm_ell_kernelILi512ELi4E21rocsparse_complex_numIfEiiS2_S2_S2_EEv20rocsparse_operation_S3_16rocsparse_order_S4_T3_S5_S5_T2_NS_24const_host_device_scalarIT1_EEPKT4_lPKT5_lS9_PT6_PKS5_21rocsparse_index_base_b ; -- Begin function _ZN9rocsparseL16sddmm_ell_kernelILi512ELi4E21rocsparse_complex_numIfEiiS2_S2_S2_EEv20rocsparse_operation_S3_16rocsparse_order_S4_T3_S5_S5_T2_NS_24const_host_device_scalarIT1_EEPKT4_lPKT5_lS9_PT6_PKS5_21rocsparse_index_base_b
	.p2align	8
	.type	_ZN9rocsparseL16sddmm_ell_kernelILi512ELi4E21rocsparse_complex_numIfEiiS2_S2_S2_EEv20rocsparse_operation_S3_16rocsparse_order_S4_T3_S5_S5_T2_NS_24const_host_device_scalarIT1_EEPKT4_lPKT5_lS9_PT6_PKS5_21rocsparse_index_base_b,@function
_ZN9rocsparseL16sddmm_ell_kernelILi512ELi4E21rocsparse_complex_numIfEiiS2_S2_S2_EEv20rocsparse_operation_S3_16rocsparse_order_S4_T3_S5_S5_T2_NS_24const_host_device_scalarIT1_EEPKT4_lPKT5_lS9_PT6_PKS5_21rocsparse_index_base_b: ; @_ZN9rocsparseL16sddmm_ell_kernelILi512ELi4E21rocsparse_complex_numIfEiiS2_S2_S2_EEv20rocsparse_operation_S3_16rocsparse_order_S4_T3_S5_S5_T2_NS_24const_host_device_scalarIT1_EEPKT4_lPKT5_lS9_PT6_PKS5_21rocsparse_index_base_b
; %bb.0:
	s_clause 0x1
	s_load_b64 s[8:9], s[0:1], 0x60
	s_load_b64 s[2:3], s[0:1], 0x20
	s_waitcnt lgkmcnt(0)
	s_bitcmp1_b32 s9, 0
	v_mov_b32_e32 v9, s2
	s_cselect_b32 s4, -1, 0
	s_delay_alu instid0(SALU_CYCLE_1)
	s_and_b32 vcc_lo, exec_lo, s4
	s_xor_b32 s9, s4, -1
	s_cbranch_vccnz .LBB21_2
; %bb.1:
	v_dual_mov_b32 v1, s2 :: v_dual_mov_b32 v2, s3
	flat_load_b32 v9, v[1:2]
.LBB21_2:
	s_load_b128 s[4:7], s[0:1], 0x40
	v_cndmask_b32_e64 v1, 0, 1, s9
	v_mov_b32_e32 v10, s3
	s_and_not1_b32 vcc_lo, exec_lo, s9
	s_cbranch_vccz .LBB21_15
; %bb.3:
	s_delay_alu instid0(VALU_DEP_2)
	v_cmp_ne_u32_e32 vcc_lo, 1, v1
	s_waitcnt lgkmcnt(0)
	v_mov_b32_e32 v11, s6
	s_cbranch_vccz .LBB21_16
.LBB21_4:
	v_cmp_ne_u32_e32 vcc_lo, 1, v1
	v_mov_b32_e32 v12, s7
	s_cbranch_vccnz .LBB21_6
.LBB21_5:
	v_dual_mov_b32 v1, s6 :: v_dual_mov_b32 v2, s7
	flat_load_b32 v12, v[1:2] offset:4
.LBB21_6:
	s_waitcnt vmcnt(0)
	v_or_b32_e32 v1, v9, v10
	s_mov_b32 s2, -1
	s_mov_b32 s3, exec_lo
	s_delay_alu instid0(VALU_DEP_1) | instskip(NEXT) | instid1(VALU_DEP_1)
	v_and_b32_e32 v1, 0x7fffffff, v1
	v_cmpx_eq_u32_e32 0, v1
	s_cbranch_execz .LBB21_8
; %bb.7:
	s_waitcnt lgkmcnt(0)
	v_cmp_neq_f32_e32 vcc_lo, 1.0, v11
	v_cmp_neq_f32_e64 s2, 0, v12
	s_delay_alu instid0(VALU_DEP_1) | instskip(NEXT) | instid1(SALU_CYCLE_1)
	s_or_b32 s2, vcc_lo, s2
	s_or_not1_b32 s2, s2, exec_lo
.LBB21_8:
	s_or_b32 exec_lo, exec_lo, s3
	s_and_saveexec_b32 s3, s2
	s_cbranch_execz .LBB21_39
; %bb.9:
	s_load_b64 s[2:3], s[0:1], 0x18
	v_lshrrev_b32_e32 v13, 2, v0
	s_delay_alu instid0(VALU_DEP_1) | instskip(SKIP_1) | instid1(VALU_DEP_1)
	v_lshl_or_b32 v1, s15, 7, v13
	s_waitcnt lgkmcnt(0)
	v_cmp_gt_i32_e32 vcc_lo, s3, v1
	s_and_b32 exec_lo, exec_lo, vcc_lo
	s_cbranch_execz .LBB21_39
; %bb.10:
	s_load_b64 s[6:7], s[0:1], 0x58
	v_ashrrev_i32_e32 v2, 31, v1
	s_delay_alu instid0(VALU_DEP_1) | instskip(SKIP_1) | instid1(VALU_DEP_1)
	v_lshlrev_b64 v[3:4], 2, v[1:2]
	s_waitcnt lgkmcnt(0)
	v_add_co_u32 v3, vcc_lo, s6, v3
	s_delay_alu instid0(VALU_DEP_2) | instskip(SKIP_4) | instid1(VALU_DEP_1)
	v_add_co_ci_u32_e32 v4, vcc_lo, s7, v4, vcc_lo
	s_mov_b32 s7, -1
	global_load_b32 v3, v[3:4], off
	s_waitcnt vmcnt(0)
	v_subrev_nc_u32_e32 v3, s8, v3
	v_cmp_lt_i32_e32 vcc_lo, -1, v3
	s_and_b32 exec_lo, exec_lo, vcc_lo
	s_cbranch_execz .LBB21_39
; %bb.11:
	s_clause 0x1
	s_load_b128 s[8:11], s[0:1], 0x0
	s_load_b32 s12, s[0:1], 0x10
	v_sub_nc_u32_e32 v6, 0, v1
	s_waitcnt lgkmcnt(0)
	s_cmp_eq_u32 s10, 1
	s_cselect_b32 s3, -1, 0
	s_cmpk_eq_i32 s8, 0x6f
	s_cselect_b32 s14, -1, 0
	s_cmpk_lg_i32 s8, 0x6f
	s_cselect_b32 s6, -1, 0
	s_abs_i32 s8, s12
	s_delay_alu instid0(SALU_CYCLE_1) | instskip(SKIP_2) | instid1(VALU_DEP_1)
	v_cvt_f32_u32_e32 v4, s8
	s_sub_i32 s12, 0, s8
	s_cmp_lg_u32 s10, 1
	v_rcp_iflag_f32_e32 v4, v4
	s_waitcnt_depctr 0xfff
	v_mul_f32_e32 v4, 0x4f7ffffe, v4
	s_delay_alu instid0(VALU_DEP_1) | instskip(NEXT) | instid1(VALU_DEP_1)
	v_cvt_u32_f32_e32 v4, v4
	v_mul_lo_u32 v5, s12, v4
	s_load_b64 s[12:13], s[0:1], 0x30
	s_delay_alu instid0(VALU_DEP_1) | instskip(NEXT) | instid1(VALU_DEP_1)
	v_mul_hi_u32 v5, v4, v5
	v_add_nc_u32_e32 v4, v4, v5
	v_max_i32_e32 v5, v1, v6
	s_delay_alu instid0(VALU_DEP_1) | instskip(NEXT) | instid1(VALU_DEP_1)
	v_mul_hi_u32 v4, v5, v4
	v_mul_lo_u32 v4, v4, s8
	s_delay_alu instid0(VALU_DEP_1) | instskip(NEXT) | instid1(VALU_DEP_1)
	v_sub_nc_u32_e32 v4, v5, v4
	v_subrev_nc_u32_e32 v5, s8, v4
	v_cmp_le_u32_e32 vcc_lo, s8, v4
	s_delay_alu instid0(VALU_DEP_2) | instskip(NEXT) | instid1(VALU_DEP_1)
	v_cndmask_b32_e32 v4, v4, v5, vcc_lo
	v_subrev_nc_u32_e32 v5, s8, v4
	v_cmp_le_u32_e32 vcc_lo, s8, v4
	s_delay_alu instid0(VALU_DEP_2) | instskip(NEXT) | instid1(VALU_DEP_1)
	v_cndmask_b32_e32 v4, v4, v5, vcc_lo
	v_xor_b32_e32 v4, v4, v2
	s_delay_alu instid0(VALU_DEP_1) | instskip(NEXT) | instid1(VALU_DEP_1)
	v_sub_nc_u32_e32 v7, v4, v2
	v_ashrrev_i32_e32 v8, 31, v7
	s_cbranch_scc0 .LBB21_17
; %bb.12:
	s_delay_alu instid0(VALU_DEP_1)
	v_dual_mov_b32 v5, v7 :: v_dual_mov_b32 v6, v8
	s_and_not1_b32 vcc_lo, exec_lo, s14
	s_cbranch_vccnz .LBB21_14
; %bb.13:
	s_waitcnt lgkmcnt(0)
	v_mul_lo_u32 v4, v8, s12
	v_mul_lo_u32 v14, v7, s13
	v_mad_u64_u32 v[5:6], null, v7, s12, 0
	s_delay_alu instid0(VALU_DEP_1)
	v_add3_u32 v6, v6, v14, v4
.LBB21_14:
	s_cbranch_execz .LBB21_18
	s_branch .LBB21_21
.LBB21_15:
	v_dual_mov_b32 v2, s2 :: v_dual_mov_b32 v3, s3
	flat_load_b32 v10, v[2:3] offset:4
	v_cmp_ne_u32_e32 vcc_lo, 1, v1
	s_waitcnt lgkmcnt(0)
	v_mov_b32_e32 v11, s6
	s_cbranch_vccnz .LBB21_4
.LBB21_16:
	v_dual_mov_b32 v2, s6 :: v_dual_mov_b32 v3, s7
	flat_load_b32 v11, v[2:3]
	v_cmp_ne_u32_e32 vcc_lo, 1, v1
	v_mov_b32_e32 v12, s7
	s_cbranch_vccz .LBB21_5
	s_branch .LBB21_6
.LBB21_17:
                                        ; implicit-def: $vgpr5_vgpr6
	s_and_not1_b32 vcc_lo, exec_lo, s7
	s_cbranch_vccnz .LBB21_21
.LBB21_18:
	s_and_not1_b32 vcc_lo, exec_lo, s6
	s_cbranch_vccnz .LBB21_20
; %bb.19:
	s_waitcnt lgkmcnt(0)
	v_mul_lo_u32 v6, v8, s12
	v_mul_lo_u32 v8, v7, s13
	v_mad_u64_u32 v[4:5], null, v7, s12, 0
	s_delay_alu instid0(VALU_DEP_1) | instskip(NEXT) | instid1(VALU_DEP_1)
	v_add3_u32 v5, v5, v8, v6
	v_dual_mov_b32 v8, v5 :: v_dual_mov_b32 v7, v4
.LBB21_20:
	s_delay_alu instid0(VALU_DEP_1)
	v_dual_mov_b32 v5, v7 :: v_dual_mov_b32 v6, v8
.LBB21_21:
	s_cmp_eq_u32 s11, 1
	v_mov_b32_e32 v4, 0
	s_cselect_b32 s8, -1, 0
	s_cmpk_eq_i32 s9, 0x6f
	s_cselect_b32 s15, -1, 0
	s_cmpk_lg_i32 s9, 0x6f
	s_cselect_b32 s6, -1, 0
	s_cmp_lg_u32 s11, 1
	s_cbranch_scc0 .LBB21_25
; %bb.22:
	v_dual_mov_b32 v8, v4 :: v_dual_mov_b32 v7, v3
	s_and_not1_b32 vcc_lo, exec_lo, s6
	s_cbranch_vccnz .LBB21_24
; %bb.23:
	v_mad_u64_u32 v[7:8], null, v3, s4, 0
	s_delay_alu instid0(VALU_DEP_1) | instskip(NEXT) | instid1(VALU_DEP_1)
	v_mad_u64_u32 v[14:15], null, v3, s5, v[8:9]
	v_mov_b32_e32 v8, v14
.LBB21_24:
	s_cbranch_execz .LBB21_26
	s_branch .LBB21_29
.LBB21_25:
                                        ; implicit-def: $vgpr7_vgpr8
.LBB21_26:
	s_and_not1_b32 vcc_lo, exec_lo, s15
	s_cbranch_vccnz .LBB21_28
; %bb.27:
	v_mad_u64_u32 v[7:8], null, v3, s4, 0
	s_delay_alu instid0(VALU_DEP_1) | instskip(NEXT) | instid1(VALU_DEP_1)
	v_mov_b32_e32 v4, v8
	v_mad_u64_u32 v[14:15], null, v3, s5, v[4:5]
	s_delay_alu instid0(VALU_DEP_1) | instskip(NEXT) | instid1(VALU_DEP_1)
	v_mov_b32_e32 v8, v14
	v_dual_mov_b32 v3, v7 :: v_dual_mov_b32 v4, v8
.LBB21_28:
	s_delay_alu instid0(VALU_DEP_1)
	v_dual_mov_b32 v8, v4 :: v_dual_mov_b32 v7, v3
.LBB21_29:
	s_load_b64 s[6:7], s[0:1], 0x50
	v_dual_mov_b32 v3, 0 :: v_dual_and_b32 v14, 3, v0
	v_mov_b32_e32 v4, 0
	s_mov_b32 s11, 0
	s_mov_b32 s10, exec_lo
	s_delay_alu instid0(VALU_DEP_2)
	v_cmpx_gt_i32_e64 s2, v14
	s_cbranch_execz .LBB21_33
; %bb.30:
	s_xor_b32 s3, s14, s3
	v_and_b32_e32 v19, 3, v0
	s_and_b32 s3, s3, exec_lo
	s_waitcnt lgkmcnt(0)
	s_cselect_b32 s13, 0, s13
	s_cselect_b32 s12, 1, s12
	s_xor_b32 s3, s15, s8
	v_lshlrev_b64 v[7:8], 3, v[7:8]
	s_and_b32 s3, s3, exec_lo
	s_cselect_b32 s8, s4, 1
	s_cselect_b32 s9, s5, 0
	v_mad_u64_u32 v[3:4], null, s8, v19, 0
	s_clause 0x1
	s_load_b64 s[4:5], s[0:1], 0x38
	s_load_b64 s[0:1], s[0:1], 0x28
	s_delay_alu instid0(VALU_DEP_1) | instskip(SKIP_1) | instid1(VALU_DEP_1)
	v_mov_b32_e32 v0, v4
	v_mad_u64_u32 v[15:16], null, s12, v19, 0
	v_mov_b32_e32 v4, v16
	s_delay_alu instid0(VALU_DEP_3) | instskip(SKIP_2) | instid1(VALU_DEP_3)
	v_mad_u64_u32 v[16:17], null, s9, v19, v[0:1]
	v_mov_b32_e32 v0, v14
	s_lshl_b64 s[8:9], s[8:9], 5
	v_mad_u64_u32 v[17:18], null, s13, v19, v[4:5]
	v_lshlrev_b64 v[5:6], 3, v[5:6]
	s_delay_alu instid0(VALU_DEP_4) | instskip(NEXT) | instid1(VALU_DEP_3)
	v_mov_b32_e32 v4, v16
	v_mov_b32_e32 v16, v17
	s_delay_alu instid0(VALU_DEP_2) | instskip(SKIP_1) | instid1(VALU_DEP_3)
	v_lshlrev_b64 v[17:18], 3, v[3:4]
	v_mov_b32_e32 v4, 0
	v_lshlrev_b64 v[15:16], 3, v[15:16]
	s_delay_alu instid0(VALU_DEP_3) | instskip(NEXT) | instid1(VALU_DEP_4)
	v_add_co_u32 v3, vcc_lo, v17, v7
	v_add_co_ci_u32_e32 v7, vcc_lo, v18, v8, vcc_lo
	s_delay_alu instid0(VALU_DEP_3) | instskip(NEXT) | instid1(VALU_DEP_4)
	v_add_co_u32 v5, vcc_lo, v15, v5
	v_add_co_ci_u32_e32 v6, vcc_lo, v16, v6, vcc_lo
	s_waitcnt lgkmcnt(0)
	v_add_co_u32 v3, vcc_lo, v3, s4
	v_add_co_ci_u32_e32 v8, vcc_lo, s5, v7, vcc_lo
	v_add_co_u32 v5, vcc_lo, s0, v5
	v_add_co_ci_u32_e32 v6, vcc_lo, s1, v6, vcc_lo
	s_delay_alu instid0(VALU_DEP_4)
	v_add_co_u32 v7, vcc_lo, v3, 4
	v_mov_b32_e32 v3, v4
	v_add_co_ci_u32_e32 v8, vcc_lo, 0, v8, vcc_lo
	s_lshl_b64 s[4:5], s[12:13], 5
	.p2align	6
.LBB21_31:                              ; =>This Inner Loop Header: Depth=1
	global_load_b64 v[15:16], v[5:6], off
	global_load_b64 v[17:18], v[7:8], off offset:-4
	v_add_co_u32 v5, vcc_lo, v5, s4
	v_add_co_ci_u32_e32 v6, vcc_lo, s5, v6, vcc_lo
	v_add_co_u32 v7, vcc_lo, v7, s8
	v_add_co_ci_u32_e32 v8, vcc_lo, s9, v8, vcc_lo
	s_waitcnt vmcnt(0)
	v_mul_f32_e64 v19, v18, -v16
	v_mul_f32_e32 v18, v18, v15
	s_delay_alu instid0(VALU_DEP_2) | instskip(NEXT) | instid1(VALU_DEP_2)
	v_dual_fmac_f32 v19, v15, v17 :: v_dual_add_nc_u32 v0, 4, v0
	v_fmac_f32_e32 v18, v16, v17
	s_delay_alu instid0(VALU_DEP_2) | instskip(NEXT) | instid1(VALU_DEP_2)
	v_cmp_le_i32_e64 s0, s2, v0
	v_dual_add_f32 v3, v3, v19 :: v_dual_add_f32 v4, v4, v18
	s_delay_alu instid0(VALU_DEP_2) | instskip(NEXT) | instid1(SALU_CYCLE_1)
	s_or_b32 s11, s0, s11
	s_and_not1_b32 exec_lo, exec_lo, s11
	s_cbranch_execnz .LBB21_31
; %bb.32:
	s_or_b32 exec_lo, exec_lo, s11
.LBB21_33:
	s_delay_alu instid0(SALU_CYCLE_1) | instskip(SKIP_2) | instid1(VALU_DEP_1)
	s_or_b32 exec_lo, exec_lo, s10
	v_lshlrev_b32_e32 v0, 3, v14
	s_mov_b32 s0, exec_lo
	v_lshl_or_b32 v0, v13, 5, v0
	ds_store_b64 v0, v[3:4]
	s_waitcnt lgkmcnt(0)
	s_barrier
	buffer_gl0_inv
	v_cmpx_gt_u32_e32 2, v14
	s_cbranch_execz .LBB21_35
; %bb.34:
	ds_load_2addr_b64 v[3:6], v0 offset1:2
	s_waitcnt lgkmcnt(0)
	v_dual_add_f32 v3, v5, v3 :: v_dual_add_f32 v4, v6, v4
	ds_store_b64 v0, v[3:4]
.LBB21_35:
	s_or_b32 exec_lo, exec_lo, s0
	v_cmp_eq_u32_e32 vcc_lo, 0, v14
	v_lshlrev_b32_e32 v3, 5, v13
	s_waitcnt lgkmcnt(0)
	s_barrier
	buffer_gl0_inv
	s_and_saveexec_b32 s0, vcc_lo
	s_cbranch_execz .LBB21_37
; %bb.36:
	ds_load_b64 v[4:5], v3 offset:8
	ds_load_b64 v[6:7], v0
	s_waitcnt lgkmcnt(0)
	v_dual_add_f32 v4, v4, v6 :: v_dual_add_f32 v5, v5, v7
	ds_store_b64 v0, v[4:5]
.LBB21_37:
	s_or_b32 exec_lo, exec_lo, s0
	s_waitcnt lgkmcnt(0)
	s_barrier
	buffer_gl0_inv
	s_and_b32 exec_lo, exec_lo, vcc_lo
	s_cbranch_execz .LBB21_39
; %bb.38:
	v_lshlrev_b64 v[0:1], 3, v[1:2]
	ds_load_b64 v[2:3], v3
	v_add_co_u32 v0, vcc_lo, s6, v0
	v_add_co_ci_u32_e32 v1, vcc_lo, s7, v1, vcc_lo
	global_load_b64 v[4:5], v[0:1], off
	s_waitcnt lgkmcnt(0)
	v_mul_f32_e64 v6, v3, -v10
	s_waitcnt vmcnt(0)
	v_dual_mul_f32 v3, v3, v9 :: v_dual_mul_f32 v8, v12, v4
	v_mul_f32_e64 v7, v12, -v5
	s_delay_alu instid0(VALU_DEP_3) | instskip(NEXT) | instid1(VALU_DEP_3)
	v_fmac_f32_e32 v6, v9, v2
	v_dual_fmac_f32 v3, v10, v2 :: v_dual_fmac_f32 v8, v5, v11
	s_delay_alu instid0(VALU_DEP_3) | instskip(NEXT) | instid1(VALU_DEP_2)
	v_fmac_f32_e32 v7, v4, v11
	v_add_f32_e32 v3, v8, v3
	s_delay_alu instid0(VALU_DEP_2)
	v_add_f32_e32 v2, v6, v7
	global_store_b64 v[0:1], v[2:3], off
.LBB21_39:
	s_nop 0
	s_sendmsg sendmsg(MSG_DEALLOC_VGPRS)
	s_endpgm
	.section	.rodata,"a",@progbits
	.p2align	6, 0x0
	.amdhsa_kernel _ZN9rocsparseL16sddmm_ell_kernelILi512ELi4E21rocsparse_complex_numIfEiiS2_S2_S2_EEv20rocsparse_operation_S3_16rocsparse_order_S4_T3_S5_S5_T2_NS_24const_host_device_scalarIT1_EEPKT4_lPKT5_lS9_PT6_PKS5_21rocsparse_index_base_b
		.amdhsa_group_segment_fixed_size 4096
		.amdhsa_private_segment_fixed_size 0
		.amdhsa_kernarg_size 104
		.amdhsa_user_sgpr_count 15
		.amdhsa_user_sgpr_dispatch_ptr 0
		.amdhsa_user_sgpr_queue_ptr 0
		.amdhsa_user_sgpr_kernarg_segment_ptr 1
		.amdhsa_user_sgpr_dispatch_id 0
		.amdhsa_user_sgpr_private_segment_size 0
		.amdhsa_wavefront_size32 1
		.amdhsa_uses_dynamic_stack 0
		.amdhsa_enable_private_segment 0
		.amdhsa_system_sgpr_workgroup_id_x 1
		.amdhsa_system_sgpr_workgroup_id_y 0
		.amdhsa_system_sgpr_workgroup_id_z 0
		.amdhsa_system_sgpr_workgroup_info 0
		.amdhsa_system_vgpr_workitem_id 0
		.amdhsa_next_free_vgpr 20
		.amdhsa_next_free_sgpr 16
		.amdhsa_reserve_vcc 1
		.amdhsa_float_round_mode_32 0
		.amdhsa_float_round_mode_16_64 0
		.amdhsa_float_denorm_mode_32 3
		.amdhsa_float_denorm_mode_16_64 3
		.amdhsa_dx10_clamp 1
		.amdhsa_ieee_mode 1
		.amdhsa_fp16_overflow 0
		.amdhsa_workgroup_processor_mode 1
		.amdhsa_memory_ordered 1
		.amdhsa_forward_progress 0
		.amdhsa_shared_vgpr_count 0
		.amdhsa_exception_fp_ieee_invalid_op 0
		.amdhsa_exception_fp_denorm_src 0
		.amdhsa_exception_fp_ieee_div_zero 0
		.amdhsa_exception_fp_ieee_overflow 0
		.amdhsa_exception_fp_ieee_underflow 0
		.amdhsa_exception_fp_ieee_inexact 0
		.amdhsa_exception_int_div_zero 0
	.end_amdhsa_kernel
	.section	.text._ZN9rocsparseL16sddmm_ell_kernelILi512ELi4E21rocsparse_complex_numIfEiiS2_S2_S2_EEv20rocsparse_operation_S3_16rocsparse_order_S4_T3_S5_S5_T2_NS_24const_host_device_scalarIT1_EEPKT4_lPKT5_lS9_PT6_PKS5_21rocsparse_index_base_b,"axG",@progbits,_ZN9rocsparseL16sddmm_ell_kernelILi512ELi4E21rocsparse_complex_numIfEiiS2_S2_S2_EEv20rocsparse_operation_S3_16rocsparse_order_S4_T3_S5_S5_T2_NS_24const_host_device_scalarIT1_EEPKT4_lPKT5_lS9_PT6_PKS5_21rocsparse_index_base_b,comdat
.Lfunc_end21:
	.size	_ZN9rocsparseL16sddmm_ell_kernelILi512ELi4E21rocsparse_complex_numIfEiiS2_S2_S2_EEv20rocsparse_operation_S3_16rocsparse_order_S4_T3_S5_S5_T2_NS_24const_host_device_scalarIT1_EEPKT4_lPKT5_lS9_PT6_PKS5_21rocsparse_index_base_b, .Lfunc_end21-_ZN9rocsparseL16sddmm_ell_kernelILi512ELi4E21rocsparse_complex_numIfEiiS2_S2_S2_EEv20rocsparse_operation_S3_16rocsparse_order_S4_T3_S5_S5_T2_NS_24const_host_device_scalarIT1_EEPKT4_lPKT5_lS9_PT6_PKS5_21rocsparse_index_base_b
                                        ; -- End function
	.section	.AMDGPU.csdata,"",@progbits
; Kernel info:
; codeLenInByte = 1616
; NumSgprs: 18
; NumVgprs: 20
; ScratchSize: 0
; MemoryBound: 0
; FloatMode: 240
; IeeeMode: 1
; LDSByteSize: 4096 bytes/workgroup (compile time only)
; SGPRBlocks: 2
; VGPRBlocks: 2
; NumSGPRsForWavesPerEU: 18
; NumVGPRsForWavesPerEU: 20
; Occupancy: 16
; WaveLimiterHint : 0
; COMPUTE_PGM_RSRC2:SCRATCH_EN: 0
; COMPUTE_PGM_RSRC2:USER_SGPR: 15
; COMPUTE_PGM_RSRC2:TRAP_HANDLER: 0
; COMPUTE_PGM_RSRC2:TGID_X_EN: 1
; COMPUTE_PGM_RSRC2:TGID_Y_EN: 0
; COMPUTE_PGM_RSRC2:TGID_Z_EN: 0
; COMPUTE_PGM_RSRC2:TIDIG_COMP_CNT: 0
	.section	.text._ZN9rocsparseL16sddmm_ell_kernelILi512ELi2E21rocsparse_complex_numIfEiiS2_S2_S2_EEv20rocsparse_operation_S3_16rocsparse_order_S4_T3_S5_S5_T2_NS_24const_host_device_scalarIT1_EEPKT4_lPKT5_lS9_PT6_PKS5_21rocsparse_index_base_b,"axG",@progbits,_ZN9rocsparseL16sddmm_ell_kernelILi512ELi2E21rocsparse_complex_numIfEiiS2_S2_S2_EEv20rocsparse_operation_S3_16rocsparse_order_S4_T3_S5_S5_T2_NS_24const_host_device_scalarIT1_EEPKT4_lPKT5_lS9_PT6_PKS5_21rocsparse_index_base_b,comdat
	.globl	_ZN9rocsparseL16sddmm_ell_kernelILi512ELi2E21rocsparse_complex_numIfEiiS2_S2_S2_EEv20rocsparse_operation_S3_16rocsparse_order_S4_T3_S5_S5_T2_NS_24const_host_device_scalarIT1_EEPKT4_lPKT5_lS9_PT6_PKS5_21rocsparse_index_base_b ; -- Begin function _ZN9rocsparseL16sddmm_ell_kernelILi512ELi2E21rocsparse_complex_numIfEiiS2_S2_S2_EEv20rocsparse_operation_S3_16rocsparse_order_S4_T3_S5_S5_T2_NS_24const_host_device_scalarIT1_EEPKT4_lPKT5_lS9_PT6_PKS5_21rocsparse_index_base_b
	.p2align	8
	.type	_ZN9rocsparseL16sddmm_ell_kernelILi512ELi2E21rocsparse_complex_numIfEiiS2_S2_S2_EEv20rocsparse_operation_S3_16rocsparse_order_S4_T3_S5_S5_T2_NS_24const_host_device_scalarIT1_EEPKT4_lPKT5_lS9_PT6_PKS5_21rocsparse_index_base_b,@function
_ZN9rocsparseL16sddmm_ell_kernelILi512ELi2E21rocsparse_complex_numIfEiiS2_S2_S2_EEv20rocsparse_operation_S3_16rocsparse_order_S4_T3_S5_S5_T2_NS_24const_host_device_scalarIT1_EEPKT4_lPKT5_lS9_PT6_PKS5_21rocsparse_index_base_b: ; @_ZN9rocsparseL16sddmm_ell_kernelILi512ELi2E21rocsparse_complex_numIfEiiS2_S2_S2_EEv20rocsparse_operation_S3_16rocsparse_order_S4_T3_S5_S5_T2_NS_24const_host_device_scalarIT1_EEPKT4_lPKT5_lS9_PT6_PKS5_21rocsparse_index_base_b
; %bb.0:
	s_clause 0x1
	s_load_b64 s[8:9], s[0:1], 0x60
	s_load_b64 s[2:3], s[0:1], 0x20
	s_waitcnt lgkmcnt(0)
	s_bitcmp1_b32 s9, 0
	v_mov_b32_e32 v9, s2
	s_cselect_b32 s4, -1, 0
	s_delay_alu instid0(SALU_CYCLE_1)
	s_and_b32 vcc_lo, exec_lo, s4
	s_xor_b32 s9, s4, -1
	s_cbranch_vccnz .LBB22_2
; %bb.1:
	v_dual_mov_b32 v1, s2 :: v_dual_mov_b32 v2, s3
	flat_load_b32 v9, v[1:2]
.LBB22_2:
	s_load_b128 s[4:7], s[0:1], 0x40
	v_cndmask_b32_e64 v1, 0, 1, s9
	v_mov_b32_e32 v10, s3
	s_and_not1_b32 vcc_lo, exec_lo, s9
	s_cbranch_vccz .LBB22_15
; %bb.3:
	s_delay_alu instid0(VALU_DEP_2)
	v_cmp_ne_u32_e32 vcc_lo, 1, v1
	s_waitcnt lgkmcnt(0)
	v_mov_b32_e32 v11, s6
	s_cbranch_vccz .LBB22_16
.LBB22_4:
	v_cmp_ne_u32_e32 vcc_lo, 1, v1
	v_mov_b32_e32 v12, s7
	s_cbranch_vccnz .LBB22_6
.LBB22_5:
	v_dual_mov_b32 v1, s6 :: v_dual_mov_b32 v2, s7
	flat_load_b32 v12, v[1:2] offset:4
.LBB22_6:
	s_waitcnt vmcnt(0)
	v_or_b32_e32 v1, v9, v10
	s_mov_b32 s2, -1
	s_mov_b32 s3, exec_lo
	s_delay_alu instid0(VALU_DEP_1) | instskip(NEXT) | instid1(VALU_DEP_1)
	v_and_b32_e32 v1, 0x7fffffff, v1
	v_cmpx_eq_u32_e32 0, v1
	s_cbranch_execz .LBB22_8
; %bb.7:
	s_waitcnt lgkmcnt(0)
	v_cmp_neq_f32_e32 vcc_lo, 1.0, v11
	v_cmp_neq_f32_e64 s2, 0, v12
	s_delay_alu instid0(VALU_DEP_1) | instskip(NEXT) | instid1(SALU_CYCLE_1)
	s_or_b32 s2, vcc_lo, s2
	s_or_not1_b32 s2, s2, exec_lo
.LBB22_8:
	s_or_b32 exec_lo, exec_lo, s3
	s_and_saveexec_b32 s3, s2
	s_cbranch_execz .LBB22_37
; %bb.9:
	s_load_b64 s[2:3], s[0:1], 0x18
	v_lshrrev_b32_e32 v13, 1, v0
	s_delay_alu instid0(VALU_DEP_1) | instskip(SKIP_1) | instid1(VALU_DEP_1)
	v_lshl_or_b32 v1, s15, 8, v13
	s_waitcnt lgkmcnt(0)
	v_cmp_gt_i32_e32 vcc_lo, s3, v1
	s_and_b32 exec_lo, exec_lo, vcc_lo
	s_cbranch_execz .LBB22_37
; %bb.10:
	s_load_b64 s[6:7], s[0:1], 0x58
	v_ashrrev_i32_e32 v2, 31, v1
	s_delay_alu instid0(VALU_DEP_1) | instskip(SKIP_1) | instid1(VALU_DEP_1)
	v_lshlrev_b64 v[3:4], 2, v[1:2]
	s_waitcnt lgkmcnt(0)
	v_add_co_u32 v3, vcc_lo, s6, v3
	s_delay_alu instid0(VALU_DEP_2) | instskip(SKIP_4) | instid1(VALU_DEP_1)
	v_add_co_ci_u32_e32 v4, vcc_lo, s7, v4, vcc_lo
	s_mov_b32 s7, -1
	global_load_b32 v3, v[3:4], off
	s_waitcnt vmcnt(0)
	v_subrev_nc_u32_e32 v3, s8, v3
	v_cmp_lt_i32_e32 vcc_lo, -1, v3
	s_and_b32 exec_lo, exec_lo, vcc_lo
	s_cbranch_execz .LBB22_37
; %bb.11:
	s_clause 0x1
	s_load_b128 s[8:11], s[0:1], 0x0
	s_load_b32 s12, s[0:1], 0x10
	v_sub_nc_u32_e32 v6, 0, v1
	s_waitcnt lgkmcnt(0)
	s_cmp_eq_u32 s10, 1
	s_cselect_b32 s3, -1, 0
	s_cmpk_eq_i32 s8, 0x6f
	s_cselect_b32 s14, -1, 0
	s_cmpk_lg_i32 s8, 0x6f
	s_cselect_b32 s6, -1, 0
	s_abs_i32 s8, s12
	s_delay_alu instid0(SALU_CYCLE_1) | instskip(SKIP_2) | instid1(VALU_DEP_1)
	v_cvt_f32_u32_e32 v4, s8
	s_sub_i32 s12, 0, s8
	s_cmp_lg_u32 s10, 1
	v_rcp_iflag_f32_e32 v4, v4
	s_waitcnt_depctr 0xfff
	v_mul_f32_e32 v4, 0x4f7ffffe, v4
	s_delay_alu instid0(VALU_DEP_1) | instskip(NEXT) | instid1(VALU_DEP_1)
	v_cvt_u32_f32_e32 v4, v4
	v_mul_lo_u32 v5, s12, v4
	s_load_b64 s[12:13], s[0:1], 0x30
	s_delay_alu instid0(VALU_DEP_1) | instskip(NEXT) | instid1(VALU_DEP_1)
	v_mul_hi_u32 v5, v4, v5
	v_add_nc_u32_e32 v4, v4, v5
	v_max_i32_e32 v5, v1, v6
	s_delay_alu instid0(VALU_DEP_1) | instskip(NEXT) | instid1(VALU_DEP_1)
	v_mul_hi_u32 v4, v5, v4
	v_mul_lo_u32 v4, v4, s8
	s_delay_alu instid0(VALU_DEP_1) | instskip(NEXT) | instid1(VALU_DEP_1)
	v_sub_nc_u32_e32 v4, v5, v4
	v_subrev_nc_u32_e32 v5, s8, v4
	v_cmp_le_u32_e32 vcc_lo, s8, v4
	s_delay_alu instid0(VALU_DEP_2) | instskip(NEXT) | instid1(VALU_DEP_1)
	v_cndmask_b32_e32 v4, v4, v5, vcc_lo
	v_subrev_nc_u32_e32 v5, s8, v4
	v_cmp_le_u32_e32 vcc_lo, s8, v4
	s_delay_alu instid0(VALU_DEP_2) | instskip(NEXT) | instid1(VALU_DEP_1)
	v_cndmask_b32_e32 v4, v4, v5, vcc_lo
	v_xor_b32_e32 v4, v4, v2
	s_delay_alu instid0(VALU_DEP_1) | instskip(NEXT) | instid1(VALU_DEP_1)
	v_sub_nc_u32_e32 v7, v4, v2
	v_ashrrev_i32_e32 v8, 31, v7
	s_cbranch_scc0 .LBB22_17
; %bb.12:
	s_delay_alu instid0(VALU_DEP_1)
	v_dual_mov_b32 v5, v7 :: v_dual_mov_b32 v6, v8
	s_and_not1_b32 vcc_lo, exec_lo, s14
	s_cbranch_vccnz .LBB22_14
; %bb.13:
	s_waitcnt lgkmcnt(0)
	v_mul_lo_u32 v4, v8, s12
	v_mul_lo_u32 v14, v7, s13
	v_mad_u64_u32 v[5:6], null, v7, s12, 0
	s_delay_alu instid0(VALU_DEP_1)
	v_add3_u32 v6, v6, v14, v4
.LBB22_14:
	s_cbranch_execz .LBB22_18
	s_branch .LBB22_21
.LBB22_15:
	v_dual_mov_b32 v2, s2 :: v_dual_mov_b32 v3, s3
	flat_load_b32 v10, v[2:3] offset:4
	v_cmp_ne_u32_e32 vcc_lo, 1, v1
	s_waitcnt lgkmcnt(0)
	v_mov_b32_e32 v11, s6
	s_cbranch_vccnz .LBB22_4
.LBB22_16:
	v_dual_mov_b32 v2, s6 :: v_dual_mov_b32 v3, s7
	flat_load_b32 v11, v[2:3]
	v_cmp_ne_u32_e32 vcc_lo, 1, v1
	v_mov_b32_e32 v12, s7
	s_cbranch_vccz .LBB22_5
	s_branch .LBB22_6
.LBB22_17:
                                        ; implicit-def: $vgpr5_vgpr6
	s_and_not1_b32 vcc_lo, exec_lo, s7
	s_cbranch_vccnz .LBB22_21
.LBB22_18:
	s_and_not1_b32 vcc_lo, exec_lo, s6
	s_cbranch_vccnz .LBB22_20
; %bb.19:
	s_waitcnt lgkmcnt(0)
	v_mul_lo_u32 v6, v8, s12
	v_mul_lo_u32 v8, v7, s13
	v_mad_u64_u32 v[4:5], null, v7, s12, 0
	s_delay_alu instid0(VALU_DEP_1) | instskip(NEXT) | instid1(VALU_DEP_1)
	v_add3_u32 v5, v5, v8, v6
	v_dual_mov_b32 v8, v5 :: v_dual_mov_b32 v7, v4
.LBB22_20:
	s_delay_alu instid0(VALU_DEP_1)
	v_dual_mov_b32 v5, v7 :: v_dual_mov_b32 v6, v8
.LBB22_21:
	s_cmp_eq_u32 s11, 1
	v_mov_b32_e32 v4, 0
	s_cselect_b32 s8, -1, 0
	s_cmpk_eq_i32 s9, 0x6f
	s_cselect_b32 s15, -1, 0
	s_cmpk_lg_i32 s9, 0x6f
	s_cselect_b32 s6, -1, 0
	s_cmp_lg_u32 s11, 1
	s_cbranch_scc0 .LBB22_25
; %bb.22:
	v_dual_mov_b32 v8, v4 :: v_dual_mov_b32 v7, v3
	s_and_not1_b32 vcc_lo, exec_lo, s6
	s_cbranch_vccnz .LBB22_24
; %bb.23:
	v_mad_u64_u32 v[7:8], null, v3, s4, 0
	s_delay_alu instid0(VALU_DEP_1) | instskip(NEXT) | instid1(VALU_DEP_1)
	v_mad_u64_u32 v[14:15], null, v3, s5, v[8:9]
	v_mov_b32_e32 v8, v14
.LBB22_24:
	s_cbranch_execz .LBB22_26
	s_branch .LBB22_29
.LBB22_25:
                                        ; implicit-def: $vgpr7_vgpr8
.LBB22_26:
	s_and_not1_b32 vcc_lo, exec_lo, s15
	s_cbranch_vccnz .LBB22_28
; %bb.27:
	v_mad_u64_u32 v[7:8], null, v3, s4, 0
	s_delay_alu instid0(VALU_DEP_1) | instskip(NEXT) | instid1(VALU_DEP_1)
	v_mov_b32_e32 v4, v8
	v_mad_u64_u32 v[14:15], null, v3, s5, v[4:5]
	s_delay_alu instid0(VALU_DEP_1) | instskip(NEXT) | instid1(VALU_DEP_1)
	v_mov_b32_e32 v8, v14
	v_dual_mov_b32 v3, v7 :: v_dual_mov_b32 v4, v8
.LBB22_28:
	s_delay_alu instid0(VALU_DEP_1)
	v_dual_mov_b32 v8, v4 :: v_dual_mov_b32 v7, v3
.LBB22_29:
	s_load_b64 s[6:7], s[0:1], 0x50
	v_dual_mov_b32 v3, 0 :: v_dual_and_b32 v14, 1, v0
	v_mov_b32_e32 v4, 0
	s_mov_b32 s11, 0
	s_mov_b32 s10, exec_lo
	s_delay_alu instid0(VALU_DEP_2)
	v_cmpx_gt_i32_e64 s2, v14
	s_cbranch_execz .LBB22_33
; %bb.30:
	s_xor_b32 s3, s14, s3
	v_and_b32_e32 v0, 1, v0
	s_and_b32 s3, s3, exec_lo
	s_waitcnt lgkmcnt(0)
	s_cselect_b32 s13, 0, s13
	s_cselect_b32 s12, 1, s12
	s_xor_b32 s3, s15, s8
	v_mul_lo_u32 v4, s13, v0
	s_and_b32 s3, s3, exec_lo
	s_cselect_b32 s9, s5, 0
	v_mul_lo_u32 v3, s12, v0
	s_cselect_b32 s8, s4, 1
	s_load_b64 s[4:5], s[0:1], 0x28
	v_mul_lo_u32 v16, s9, v0
	v_mul_lo_u32 v15, s8, v0
	s_load_b64 s[0:1], s[0:1], 0x38
	v_lshlrev_b64 v[5:6], 3, v[5:6]
	v_lshlrev_b64 v[7:8], 3, v[7:8]
	;; [unrolled: 1-line block ×3, first 2 shown]
	s_lshl_b64 s[8:9], s[8:9], 4
	s_delay_alu instid0(VALU_DEP_4) | instskip(NEXT) | instid1(VALU_DEP_2)
	v_lshlrev_b64 v[15:16], 3, v[15:16]
	v_add_co_u32 v0, vcc_lo, v3, v5
	s_delay_alu instid0(VALU_DEP_3) | instskip(NEXT) | instid1(VALU_DEP_3)
	v_add_co_ci_u32_e32 v3, vcc_lo, v4, v6, vcc_lo
	v_add_co_u32 v4, vcc_lo, v15, v7
	s_delay_alu instid0(VALU_DEP_4)
	v_add_co_ci_u32_e32 v7, vcc_lo, v16, v8, vcc_lo
	s_waitcnt lgkmcnt(0)
	v_add_co_u32 v5, vcc_lo, s4, v0
	v_add_co_ci_u32_e32 v6, vcc_lo, s5, v3, vcc_lo
	v_add_co_u32 v0, vcc_lo, v4, s0
	v_add_co_ci_u32_e32 v3, vcc_lo, s1, v7, vcc_lo
	v_mov_b32_e32 v4, 0
	s_delay_alu instid0(VALU_DEP_3) | instskip(NEXT) | instid1(VALU_DEP_3)
	v_add_co_u32 v7, vcc_lo, v0, 4
	v_add_co_ci_u32_e32 v8, vcc_lo, 0, v3, vcc_lo
	s_delay_alu instid0(VALU_DEP_3)
	v_dual_mov_b32 v3, v4 :: v_dual_mov_b32 v0, v14
	s_lshl_b64 s[4:5], s[12:13], 4
	.p2align	6
.LBB22_31:                              ; =>This Inner Loop Header: Depth=1
	global_load_b64 v[15:16], v[5:6], off
	global_load_b64 v[17:18], v[7:8], off offset:-4
	v_add_co_u32 v5, vcc_lo, v5, s4
	v_add_co_ci_u32_e32 v6, vcc_lo, s5, v6, vcc_lo
	v_add_co_u32 v7, vcc_lo, v7, s8
	v_add_co_ci_u32_e32 v8, vcc_lo, s9, v8, vcc_lo
	s_waitcnt vmcnt(0)
	v_mul_f32_e64 v19, v18, -v16
	v_mul_f32_e32 v18, v18, v15
	s_delay_alu instid0(VALU_DEP_2) | instskip(NEXT) | instid1(VALU_DEP_2)
	v_dual_fmac_f32 v19, v15, v17 :: v_dual_add_nc_u32 v0, 2, v0
	v_fmac_f32_e32 v18, v16, v17
	s_delay_alu instid0(VALU_DEP_2) | instskip(NEXT) | instid1(VALU_DEP_2)
	v_cmp_le_i32_e64 s0, s2, v0
	v_dual_add_f32 v3, v3, v19 :: v_dual_add_f32 v4, v4, v18
	s_delay_alu instid0(VALU_DEP_2) | instskip(NEXT) | instid1(SALU_CYCLE_1)
	s_or_b32 s11, s0, s11
	s_and_not1_b32 exec_lo, exec_lo, s11
	s_cbranch_execnz .LBB22_31
; %bb.32:
	s_or_b32 exec_lo, exec_lo, s11
.LBB22_33:
	s_delay_alu instid0(SALU_CYCLE_1) | instskip(SKIP_2) | instid1(VALU_DEP_2)
	s_or_b32 exec_lo, exec_lo, s10
	v_lshlrev_b32_e32 v0, 4, v13
	v_cmp_eq_u32_e32 vcc_lo, 0, v14
	v_lshl_or_b32 v5, v14, 3, v0
	ds_store_b64 v5, v[3:4]
	s_waitcnt lgkmcnt(0)
	s_barrier
	buffer_gl0_inv
	s_and_saveexec_b32 s0, vcc_lo
	s_cbranch_execz .LBB22_35
; %bb.34:
	ds_load_b64 v[3:4], v0 offset:8
	ds_load_b64 v[6:7], v5
	s_waitcnt lgkmcnt(0)
	v_dual_add_f32 v3, v3, v6 :: v_dual_add_f32 v4, v4, v7
	ds_store_b64 v5, v[3:4]
.LBB22_35:
	s_or_b32 exec_lo, exec_lo, s0
	s_waitcnt lgkmcnt(0)
	s_barrier
	buffer_gl0_inv
	s_and_b32 exec_lo, exec_lo, vcc_lo
	s_cbranch_execz .LBB22_37
; %bb.36:
	v_lshlrev_b64 v[1:2], 3, v[1:2]
	ds_load_b64 v[5:6], v0
	v_add_co_u32 v1, vcc_lo, s6, v1
	v_add_co_ci_u32_e32 v2, vcc_lo, s7, v2, vcc_lo
	global_load_b64 v[3:4], v[1:2], off
	s_waitcnt lgkmcnt(0)
	v_mul_f32_e64 v0, v6, -v10
	s_delay_alu instid0(VALU_DEP_1) | instskip(SKIP_4) | instid1(VALU_DEP_2)
	v_fmac_f32_e32 v0, v9, v5
	s_waitcnt vmcnt(0)
	v_mul_f32_e64 v7, v12, -v4
	v_mul_f32_e32 v6, v6, v9
	v_mul_f32_e32 v8, v12, v3
	v_dual_fmac_f32 v7, v3, v11 :: v_dual_fmac_f32 v6, v10, v5
	s_delay_alu instid0(VALU_DEP_2) | instskip(NEXT) | instid1(VALU_DEP_2)
	v_fmac_f32_e32 v8, v4, v11
	v_add_f32_e32 v3, v0, v7
	s_delay_alu instid0(VALU_DEP_2)
	v_add_f32_e32 v4, v8, v6
	global_store_b64 v[1:2], v[3:4], off
.LBB22_37:
	s_nop 0
	s_sendmsg sendmsg(MSG_DEALLOC_VGPRS)
	s_endpgm
	.section	.rodata,"a",@progbits
	.p2align	6, 0x0
	.amdhsa_kernel _ZN9rocsparseL16sddmm_ell_kernelILi512ELi2E21rocsparse_complex_numIfEiiS2_S2_S2_EEv20rocsparse_operation_S3_16rocsparse_order_S4_T3_S5_S5_T2_NS_24const_host_device_scalarIT1_EEPKT4_lPKT5_lS9_PT6_PKS5_21rocsparse_index_base_b
		.amdhsa_group_segment_fixed_size 4096
		.amdhsa_private_segment_fixed_size 0
		.amdhsa_kernarg_size 104
		.amdhsa_user_sgpr_count 15
		.amdhsa_user_sgpr_dispatch_ptr 0
		.amdhsa_user_sgpr_queue_ptr 0
		.amdhsa_user_sgpr_kernarg_segment_ptr 1
		.amdhsa_user_sgpr_dispatch_id 0
		.amdhsa_user_sgpr_private_segment_size 0
		.amdhsa_wavefront_size32 1
		.amdhsa_uses_dynamic_stack 0
		.amdhsa_enable_private_segment 0
		.amdhsa_system_sgpr_workgroup_id_x 1
		.amdhsa_system_sgpr_workgroup_id_y 0
		.amdhsa_system_sgpr_workgroup_id_z 0
		.amdhsa_system_sgpr_workgroup_info 0
		.amdhsa_system_vgpr_workitem_id 0
		.amdhsa_next_free_vgpr 20
		.amdhsa_next_free_sgpr 16
		.amdhsa_reserve_vcc 1
		.amdhsa_float_round_mode_32 0
		.amdhsa_float_round_mode_16_64 0
		.amdhsa_float_denorm_mode_32 3
		.amdhsa_float_denorm_mode_16_64 3
		.amdhsa_dx10_clamp 1
		.amdhsa_ieee_mode 1
		.amdhsa_fp16_overflow 0
		.amdhsa_workgroup_processor_mode 1
		.amdhsa_memory_ordered 1
		.amdhsa_forward_progress 0
		.amdhsa_shared_vgpr_count 0
		.amdhsa_exception_fp_ieee_invalid_op 0
		.amdhsa_exception_fp_denorm_src 0
		.amdhsa_exception_fp_ieee_div_zero 0
		.amdhsa_exception_fp_ieee_overflow 0
		.amdhsa_exception_fp_ieee_underflow 0
		.amdhsa_exception_fp_ieee_inexact 0
		.amdhsa_exception_int_div_zero 0
	.end_amdhsa_kernel
	.section	.text._ZN9rocsparseL16sddmm_ell_kernelILi512ELi2E21rocsparse_complex_numIfEiiS2_S2_S2_EEv20rocsparse_operation_S3_16rocsparse_order_S4_T3_S5_S5_T2_NS_24const_host_device_scalarIT1_EEPKT4_lPKT5_lS9_PT6_PKS5_21rocsparse_index_base_b,"axG",@progbits,_ZN9rocsparseL16sddmm_ell_kernelILi512ELi2E21rocsparse_complex_numIfEiiS2_S2_S2_EEv20rocsparse_operation_S3_16rocsparse_order_S4_T3_S5_S5_T2_NS_24const_host_device_scalarIT1_EEPKT4_lPKT5_lS9_PT6_PKS5_21rocsparse_index_base_b,comdat
.Lfunc_end22:
	.size	_ZN9rocsparseL16sddmm_ell_kernelILi512ELi2E21rocsparse_complex_numIfEiiS2_S2_S2_EEv20rocsparse_operation_S3_16rocsparse_order_S4_T3_S5_S5_T2_NS_24const_host_device_scalarIT1_EEPKT4_lPKT5_lS9_PT6_PKS5_21rocsparse_index_base_b, .Lfunc_end22-_ZN9rocsparseL16sddmm_ell_kernelILi512ELi2E21rocsparse_complex_numIfEiiS2_S2_S2_EEv20rocsparse_operation_S3_16rocsparse_order_S4_T3_S5_S5_T2_NS_24const_host_device_scalarIT1_EEPKT4_lPKT5_lS9_PT6_PKS5_21rocsparse_index_base_b
                                        ; -- End function
	.section	.AMDGPU.csdata,"",@progbits
; Kernel info:
; codeLenInByte = 1524
; NumSgprs: 18
; NumVgprs: 20
; ScratchSize: 0
; MemoryBound: 0
; FloatMode: 240
; IeeeMode: 1
; LDSByteSize: 4096 bytes/workgroup (compile time only)
; SGPRBlocks: 2
; VGPRBlocks: 2
; NumSGPRsForWavesPerEU: 18
; NumVGPRsForWavesPerEU: 20
; Occupancy: 16
; WaveLimiterHint : 0
; COMPUTE_PGM_RSRC2:SCRATCH_EN: 0
; COMPUTE_PGM_RSRC2:USER_SGPR: 15
; COMPUTE_PGM_RSRC2:TRAP_HANDLER: 0
; COMPUTE_PGM_RSRC2:TGID_X_EN: 1
; COMPUTE_PGM_RSRC2:TGID_Y_EN: 0
; COMPUTE_PGM_RSRC2:TGID_Z_EN: 0
; COMPUTE_PGM_RSRC2:TIDIG_COMP_CNT: 0
	.section	.text._ZN9rocsparseL16sddmm_ell_kernelILi512ELi1E21rocsparse_complex_numIfEiiS2_S2_S2_EEv20rocsparse_operation_S3_16rocsparse_order_S4_T3_S5_S5_T2_NS_24const_host_device_scalarIT1_EEPKT4_lPKT5_lS9_PT6_PKS5_21rocsparse_index_base_b,"axG",@progbits,_ZN9rocsparseL16sddmm_ell_kernelILi512ELi1E21rocsparse_complex_numIfEiiS2_S2_S2_EEv20rocsparse_operation_S3_16rocsparse_order_S4_T3_S5_S5_T2_NS_24const_host_device_scalarIT1_EEPKT4_lPKT5_lS9_PT6_PKS5_21rocsparse_index_base_b,comdat
	.globl	_ZN9rocsparseL16sddmm_ell_kernelILi512ELi1E21rocsparse_complex_numIfEiiS2_S2_S2_EEv20rocsparse_operation_S3_16rocsparse_order_S4_T3_S5_S5_T2_NS_24const_host_device_scalarIT1_EEPKT4_lPKT5_lS9_PT6_PKS5_21rocsparse_index_base_b ; -- Begin function _ZN9rocsparseL16sddmm_ell_kernelILi512ELi1E21rocsparse_complex_numIfEiiS2_S2_S2_EEv20rocsparse_operation_S3_16rocsparse_order_S4_T3_S5_S5_T2_NS_24const_host_device_scalarIT1_EEPKT4_lPKT5_lS9_PT6_PKS5_21rocsparse_index_base_b
	.p2align	8
	.type	_ZN9rocsparseL16sddmm_ell_kernelILi512ELi1E21rocsparse_complex_numIfEiiS2_S2_S2_EEv20rocsparse_operation_S3_16rocsparse_order_S4_T3_S5_S5_T2_NS_24const_host_device_scalarIT1_EEPKT4_lPKT5_lS9_PT6_PKS5_21rocsparse_index_base_b,@function
_ZN9rocsparseL16sddmm_ell_kernelILi512ELi1E21rocsparse_complex_numIfEiiS2_S2_S2_EEv20rocsparse_operation_S3_16rocsparse_order_S4_T3_S5_S5_T2_NS_24const_host_device_scalarIT1_EEPKT4_lPKT5_lS9_PT6_PKS5_21rocsparse_index_base_b: ; @_ZN9rocsparseL16sddmm_ell_kernelILi512ELi1E21rocsparse_complex_numIfEiiS2_S2_S2_EEv20rocsparse_operation_S3_16rocsparse_order_S4_T3_S5_S5_T2_NS_24const_host_device_scalarIT1_EEPKT4_lPKT5_lS9_PT6_PKS5_21rocsparse_index_base_b
; %bb.0:
	s_clause 0x1
	s_load_b64 s[8:9], s[0:1], 0x60
	s_load_b64 s[2:3], s[0:1], 0x20
	s_waitcnt lgkmcnt(0)
	s_bitcmp1_b32 s9, 0
	v_mov_b32_e32 v9, s2
	s_cselect_b32 s4, -1, 0
	s_delay_alu instid0(SALU_CYCLE_1)
	s_and_b32 vcc_lo, exec_lo, s4
	s_xor_b32 s9, s4, -1
	s_cbranch_vccnz .LBB23_2
; %bb.1:
	v_dual_mov_b32 v1, s2 :: v_dual_mov_b32 v2, s3
	flat_load_b32 v9, v[1:2]
.LBB23_2:
	s_load_b128 s[4:7], s[0:1], 0x40
	v_cndmask_b32_e64 v1, 0, 1, s9
	v_mov_b32_e32 v10, s3
	s_and_not1_b32 vcc_lo, exec_lo, s9
	s_cbranch_vccz .LBB23_15
; %bb.3:
	s_delay_alu instid0(VALU_DEP_2)
	v_cmp_ne_u32_e32 vcc_lo, 1, v1
	s_waitcnt lgkmcnt(0)
	v_mov_b32_e32 v11, s6
	s_cbranch_vccz .LBB23_16
.LBB23_4:
	v_cmp_ne_u32_e32 vcc_lo, 1, v1
	v_mov_b32_e32 v12, s7
	s_cbranch_vccnz .LBB23_6
.LBB23_5:
	v_dual_mov_b32 v1, s6 :: v_dual_mov_b32 v2, s7
	flat_load_b32 v12, v[1:2] offset:4
.LBB23_6:
	s_waitcnt vmcnt(0)
	v_or_b32_e32 v1, v9, v10
	s_mov_b32 s2, -1
	s_mov_b32 s3, exec_lo
	s_delay_alu instid0(VALU_DEP_1) | instskip(NEXT) | instid1(VALU_DEP_1)
	v_and_b32_e32 v1, 0x7fffffff, v1
	v_cmpx_eq_u32_e32 0, v1
	s_cbranch_execz .LBB23_8
; %bb.7:
	s_waitcnt lgkmcnt(0)
	v_cmp_neq_f32_e32 vcc_lo, 1.0, v11
	v_cmp_neq_f32_e64 s2, 0, v12
	s_delay_alu instid0(VALU_DEP_1) | instskip(NEXT) | instid1(SALU_CYCLE_1)
	s_or_b32 s2, vcc_lo, s2
	s_or_not1_b32 s2, s2, exec_lo
.LBB23_8:
	s_or_b32 exec_lo, exec_lo, s3
	s_and_saveexec_b32 s3, s2
	s_cbranch_execz .LBB23_33
; %bb.9:
	s_load_b64 s[2:3], s[0:1], 0x18
	v_lshl_or_b32 v1, s15, 9, v0
	s_waitcnt lgkmcnt(0)
	s_delay_alu instid0(VALU_DEP_1)
	v_cmp_gt_i32_e32 vcc_lo, s3, v1
	s_and_b32 exec_lo, exec_lo, vcc_lo
	s_cbranch_execz .LBB23_33
; %bb.10:
	s_load_b64 s[6:7], s[0:1], 0x58
	v_ashrrev_i32_e32 v2, 31, v1
	s_mov_b32 s13, -1
	s_delay_alu instid0(VALU_DEP_1) | instskip(SKIP_1) | instid1(VALU_DEP_1)
	v_lshlrev_b64 v[3:4], 2, v[1:2]
	s_waitcnt lgkmcnt(0)
	v_add_co_u32 v3, vcc_lo, s6, v3
	s_delay_alu instid0(VALU_DEP_2) | instskip(SKIP_3) | instid1(VALU_DEP_1)
	v_add_co_ci_u32_e32 v4, vcc_lo, s7, v4, vcc_lo
	global_load_b32 v3, v[3:4], off
	s_waitcnt vmcnt(0)
	v_subrev_nc_u32_e32 v3, s8, v3
	v_cmp_lt_i32_e32 vcc_lo, -1, v3
	s_and_b32 exec_lo, exec_lo, vcc_lo
	s_cbranch_execz .LBB23_33
; %bb.11:
	s_clause 0x1
	s_load_b128 s[8:11], s[0:1], 0x0
	s_load_b32 s6, s[0:1], 0x10
	v_sub_nc_u32_e32 v6, 0, v1
	s_waitcnt lgkmcnt(0)
	s_cmp_eq_u32 s10, 1
	s_cselect_b32 s3, -1, 0
	s_cmpk_eq_i32 s8, 0x6f
	s_cselect_b32 s12, -1, 0
	s_cmpk_lg_i32 s8, 0x6f
	s_cselect_b32 s8, -1, 0
	s_abs_i32 s14, s6
	s_delay_alu instid0(SALU_CYCLE_1) | instskip(SKIP_2) | instid1(VALU_DEP_1)
	v_cvt_f32_u32_e32 v4, s14
	s_sub_i32 s6, 0, s14
	s_cmp_lg_u32 s10, 1
	v_rcp_iflag_f32_e32 v4, v4
	s_waitcnt_depctr 0xfff
	v_mul_f32_e32 v4, 0x4f7ffffe, v4
	s_delay_alu instid0(VALU_DEP_1) | instskip(NEXT) | instid1(VALU_DEP_1)
	v_cvt_u32_f32_e32 v4, v4
	v_mul_lo_u32 v5, s6, v4
	s_load_b64 s[6:7], s[0:1], 0x30
	s_delay_alu instid0(VALU_DEP_1) | instskip(NEXT) | instid1(VALU_DEP_1)
	v_mul_hi_u32 v5, v4, v5
	v_add_nc_u32_e32 v4, v4, v5
	v_max_i32_e32 v5, v1, v6
	s_delay_alu instid0(VALU_DEP_1) | instskip(NEXT) | instid1(VALU_DEP_1)
	v_mul_hi_u32 v4, v5, v4
	v_mul_lo_u32 v4, v4, s14
	s_delay_alu instid0(VALU_DEP_1) | instskip(NEXT) | instid1(VALU_DEP_1)
	v_sub_nc_u32_e32 v4, v5, v4
	v_subrev_nc_u32_e32 v5, s14, v4
	v_cmp_le_u32_e32 vcc_lo, s14, v4
	s_delay_alu instid0(VALU_DEP_2) | instskip(NEXT) | instid1(VALU_DEP_1)
	v_cndmask_b32_e32 v4, v4, v5, vcc_lo
	v_subrev_nc_u32_e32 v5, s14, v4
	v_cmp_le_u32_e32 vcc_lo, s14, v4
	s_delay_alu instid0(VALU_DEP_2) | instskip(NEXT) | instid1(VALU_DEP_1)
	v_cndmask_b32_e32 v4, v4, v5, vcc_lo
	v_xor_b32_e32 v4, v4, v2
	s_delay_alu instid0(VALU_DEP_1) | instskip(NEXT) | instid1(VALU_DEP_1)
	v_sub_nc_u32_e32 v7, v4, v2
	v_ashrrev_i32_e32 v8, 31, v7
	s_cbranch_scc0 .LBB23_17
; %bb.12:
	s_delay_alu instid0(VALU_DEP_1)
	v_dual_mov_b32 v5, v7 :: v_dual_mov_b32 v6, v8
	s_and_not1_b32 vcc_lo, exec_lo, s12
	s_cbranch_vccnz .LBB23_14
; %bb.13:
	s_waitcnt lgkmcnt(0)
	v_mul_lo_u32 v4, v8, s6
	v_mul_lo_u32 v13, v7, s7
	v_mad_u64_u32 v[5:6], null, v7, s6, 0
	s_delay_alu instid0(VALU_DEP_1)
	v_add3_u32 v6, v6, v13, v4
.LBB23_14:
	s_cbranch_execz .LBB23_18
	s_branch .LBB23_21
.LBB23_15:
	v_dual_mov_b32 v2, s2 :: v_dual_mov_b32 v3, s3
	flat_load_b32 v10, v[2:3] offset:4
	v_cmp_ne_u32_e32 vcc_lo, 1, v1
	s_waitcnt lgkmcnt(0)
	v_mov_b32_e32 v11, s6
	s_cbranch_vccnz .LBB23_4
.LBB23_16:
	v_dual_mov_b32 v2, s6 :: v_dual_mov_b32 v3, s7
	flat_load_b32 v11, v[2:3]
	v_cmp_ne_u32_e32 vcc_lo, 1, v1
	v_mov_b32_e32 v12, s7
	s_cbranch_vccz .LBB23_5
	s_branch .LBB23_6
.LBB23_17:
                                        ; implicit-def: $vgpr5_vgpr6
	s_and_not1_b32 vcc_lo, exec_lo, s13
	s_cbranch_vccnz .LBB23_21
.LBB23_18:
	s_and_not1_b32 vcc_lo, exec_lo, s8
	s_cbranch_vccnz .LBB23_20
; %bb.19:
	s_waitcnt lgkmcnt(0)
	v_mul_lo_u32 v6, v8, s6
	v_mul_lo_u32 v8, v7, s7
	v_mad_u64_u32 v[4:5], null, v7, s6, 0
	s_delay_alu instid0(VALU_DEP_1) | instskip(NEXT) | instid1(VALU_DEP_1)
	v_add3_u32 v5, v5, v8, v6
	v_dual_mov_b32 v8, v5 :: v_dual_mov_b32 v7, v4
.LBB23_20:
	s_delay_alu instid0(VALU_DEP_1)
	v_dual_mov_b32 v5, v7 :: v_dual_mov_b32 v6, v8
.LBB23_21:
	s_cmp_eq_u32 s11, 1
	v_mov_b32_e32 v4, 0
	s_cselect_b32 s10, -1, 0
	s_cmpk_eq_i32 s9, 0x6f
	s_cselect_b32 s13, -1, 0
	s_cmpk_lg_i32 s9, 0x6f
	s_cselect_b32 s8, -1, 0
	s_cmp_lg_u32 s11, 1
	s_cbranch_scc0 .LBB23_25
; %bb.22:
	v_dual_mov_b32 v8, v4 :: v_dual_mov_b32 v7, v3
	s_and_not1_b32 vcc_lo, exec_lo, s8
	s_cbranch_vccnz .LBB23_24
; %bb.23:
	v_mad_u64_u32 v[7:8], null, v3, s4, 0
	s_delay_alu instid0(VALU_DEP_1) | instskip(NEXT) | instid1(VALU_DEP_1)
	v_mad_u64_u32 v[13:14], null, v3, s5, v[8:9]
	v_mov_b32_e32 v8, v13
.LBB23_24:
	s_cbranch_execz .LBB23_26
	s_branch .LBB23_29
.LBB23_25:
                                        ; implicit-def: $vgpr7_vgpr8
.LBB23_26:
	s_and_not1_b32 vcc_lo, exec_lo, s13
	s_cbranch_vccnz .LBB23_28
; %bb.27:
	v_mad_u64_u32 v[7:8], null, v3, s4, 0
	s_delay_alu instid0(VALU_DEP_1) | instskip(NEXT) | instid1(VALU_DEP_1)
	v_mov_b32_e32 v4, v8
	v_mad_u64_u32 v[13:14], null, v3, s5, v[4:5]
	s_delay_alu instid0(VALU_DEP_1) | instskip(NEXT) | instid1(VALU_DEP_1)
	v_mov_b32_e32 v8, v13
	v_dual_mov_b32 v3, v7 :: v_dual_mov_b32 v4, v8
.LBB23_28:
	s_delay_alu instid0(VALU_DEP_1)
	v_dual_mov_b32 v8, v4 :: v_dual_mov_b32 v7, v3
.LBB23_29:
	s_load_b64 s[8:9], s[0:1], 0x50
	v_dual_mov_b32 v4, 0 :: v_dual_mov_b32 v3, 0
	s_cmp_lt_i32 s2, 1
	s_cbranch_scc1 .LBB23_32
; %bb.30:
	s_clause 0x1
	s_load_b64 s[14:15], s[0:1], 0x38
	s_load_b64 s[0:1], s[0:1], 0x28
	v_lshlrev_b64 v[7:8], 3, v[7:8]
	v_lshlrev_b64 v[5:6], 3, v[5:6]
	s_xor_b32 s3, s12, s3
	v_mov_b32_e32 v4, 0
	s_and_b32 s3, s3, exec_lo
	s_waitcnt lgkmcnt(0)
	s_cselect_b32 s7, 0, s7
	s_cselect_b32 s6, 1, s6
	s_xor_b32 s3, s13, s10
	s_delay_alu instid0(SALU_CYCLE_1) | instskip(SKIP_2) | instid1(SALU_CYCLE_1)
	s_and_b32 s3, s3, exec_lo
	s_cselect_b32 s5, s5, 0
	s_cselect_b32 s4, s4, 1
	s_lshl_b64 s[4:5], s[4:5], 3
	v_add_co_u32 v3, vcc_lo, v7, s14
	v_add_co_ci_u32_e32 v8, vcc_lo, s15, v8, vcc_lo
	v_add_co_u32 v5, vcc_lo, s0, v5
	v_add_co_ci_u32_e32 v6, vcc_lo, s1, v6, vcc_lo
	s_delay_alu instid0(VALU_DEP_4)
	v_add_co_u32 v7, vcc_lo, v3, 4
	v_mov_b32_e32 v3, 0
	v_add_co_ci_u32_e32 v8, vcc_lo, 0, v8, vcc_lo
	s_lshl_b64 s[0:1], s[6:7], 3
	.p2align	6
.LBB23_31:                              ; =>This Inner Loop Header: Depth=1
	global_load_b64 v[13:14], v[5:6], off
	global_load_b64 v[15:16], v[7:8], off offset:-4
	v_add_co_u32 v5, vcc_lo, v5, s0
	v_add_co_ci_u32_e32 v6, vcc_lo, s1, v6, vcc_lo
	v_add_co_u32 v7, vcc_lo, v7, s4
	v_add_co_ci_u32_e32 v8, vcc_lo, s5, v8, vcc_lo
	s_add_i32 s2, s2, -1
	s_delay_alu instid0(SALU_CYCLE_1) | instskip(SKIP_2) | instid1(VALU_DEP_1)
	s_cmp_eq_u32 s2, 0
	s_waitcnt vmcnt(0)
	v_mul_f32_e64 v17, v16, -v14
	v_dual_mul_f32 v16, v16, v13 :: v_dual_fmac_f32 v17, v13, v15
	s_delay_alu instid0(VALU_DEP_1) | instskip(NEXT) | instid1(VALU_DEP_1)
	v_dual_fmac_f32 v16, v14, v15 :: v_dual_add_f32 v3, v3, v17
	v_add_f32_e32 v4, v4, v16
	s_cbranch_scc0 .LBB23_31
.LBB23_32:
	v_lshlrev_b64 v[1:2], 3, v[1:2]
	v_lshlrev_b32_e32 v5, 3, v0
	ds_store_b64 v5, v[3:4]
	s_waitcnt lgkmcnt(0)
	v_add_co_u32 v0, vcc_lo, s8, v1
	v_add_co_ci_u32_e32 v1, vcc_lo, s9, v2, vcc_lo
	s_barrier
	buffer_gl0_inv
	global_load_b64 v[2:3], v[0:1], off
	s_waitcnt vmcnt(0)
	v_mul_f32_e32 v8, v12, v2
	ds_load_b64 v[4:5], v5
	v_mul_f32_e64 v7, v12, -v3
	v_fmac_f32_e32 v8, v3, v11
	s_delay_alu instid0(VALU_DEP_2) | instskip(SKIP_3) | instid1(VALU_DEP_2)
	v_fmac_f32_e32 v7, v2, v11
	s_waitcnt lgkmcnt(0)
	v_mul_f32_e64 v6, v5, -v10
	v_mul_f32_e32 v5, v5, v9
	v_fmac_f32_e32 v6, v9, v4
	s_delay_alu instid0(VALU_DEP_2) | instskip(NEXT) | instid1(VALU_DEP_1)
	v_fmac_f32_e32 v5, v10, v4
	v_dual_add_f32 v2, v6, v7 :: v_dual_add_f32 v3, v8, v5
	global_store_b64 v[0:1], v[2:3], off
.LBB23_33:
	s_nop 0
	s_sendmsg sendmsg(MSG_DEALLOC_VGPRS)
	s_endpgm
	.section	.rodata,"a",@progbits
	.p2align	6, 0x0
	.amdhsa_kernel _ZN9rocsparseL16sddmm_ell_kernelILi512ELi1E21rocsparse_complex_numIfEiiS2_S2_S2_EEv20rocsparse_operation_S3_16rocsparse_order_S4_T3_S5_S5_T2_NS_24const_host_device_scalarIT1_EEPKT4_lPKT5_lS9_PT6_PKS5_21rocsparse_index_base_b
		.amdhsa_group_segment_fixed_size 4096
		.amdhsa_private_segment_fixed_size 0
		.amdhsa_kernarg_size 104
		.amdhsa_user_sgpr_count 15
		.amdhsa_user_sgpr_dispatch_ptr 0
		.amdhsa_user_sgpr_queue_ptr 0
		.amdhsa_user_sgpr_kernarg_segment_ptr 1
		.amdhsa_user_sgpr_dispatch_id 0
		.amdhsa_user_sgpr_private_segment_size 0
		.amdhsa_wavefront_size32 1
		.amdhsa_uses_dynamic_stack 0
		.amdhsa_enable_private_segment 0
		.amdhsa_system_sgpr_workgroup_id_x 1
		.amdhsa_system_sgpr_workgroup_id_y 0
		.amdhsa_system_sgpr_workgroup_id_z 0
		.amdhsa_system_sgpr_workgroup_info 0
		.amdhsa_system_vgpr_workitem_id 0
		.amdhsa_next_free_vgpr 18
		.amdhsa_next_free_sgpr 16
		.amdhsa_reserve_vcc 1
		.amdhsa_float_round_mode_32 0
		.amdhsa_float_round_mode_16_64 0
		.amdhsa_float_denorm_mode_32 3
		.amdhsa_float_denorm_mode_16_64 3
		.amdhsa_dx10_clamp 1
		.amdhsa_ieee_mode 1
		.amdhsa_fp16_overflow 0
		.amdhsa_workgroup_processor_mode 1
		.amdhsa_memory_ordered 1
		.amdhsa_forward_progress 0
		.amdhsa_shared_vgpr_count 0
		.amdhsa_exception_fp_ieee_invalid_op 0
		.amdhsa_exception_fp_denorm_src 0
		.amdhsa_exception_fp_ieee_div_zero 0
		.amdhsa_exception_fp_ieee_overflow 0
		.amdhsa_exception_fp_ieee_underflow 0
		.amdhsa_exception_fp_ieee_inexact 0
		.amdhsa_exception_int_div_zero 0
	.end_amdhsa_kernel
	.section	.text._ZN9rocsparseL16sddmm_ell_kernelILi512ELi1E21rocsparse_complex_numIfEiiS2_S2_S2_EEv20rocsparse_operation_S3_16rocsparse_order_S4_T3_S5_S5_T2_NS_24const_host_device_scalarIT1_EEPKT4_lPKT5_lS9_PT6_PKS5_21rocsparse_index_base_b,"axG",@progbits,_ZN9rocsparseL16sddmm_ell_kernelILi512ELi1E21rocsparse_complex_numIfEiiS2_S2_S2_EEv20rocsparse_operation_S3_16rocsparse_order_S4_T3_S5_S5_T2_NS_24const_host_device_scalarIT1_EEPKT4_lPKT5_lS9_PT6_PKS5_21rocsparse_index_base_b,comdat
.Lfunc_end23:
	.size	_ZN9rocsparseL16sddmm_ell_kernelILi512ELi1E21rocsparse_complex_numIfEiiS2_S2_S2_EEv20rocsparse_operation_S3_16rocsparse_order_S4_T3_S5_S5_T2_NS_24const_host_device_scalarIT1_EEPKT4_lPKT5_lS9_PT6_PKS5_21rocsparse_index_base_b, .Lfunc_end23-_ZN9rocsparseL16sddmm_ell_kernelILi512ELi1E21rocsparse_complex_numIfEiiS2_S2_S2_EEv20rocsparse_operation_S3_16rocsparse_order_S4_T3_S5_S5_T2_NS_24const_host_device_scalarIT1_EEPKT4_lPKT5_lS9_PT6_PKS5_21rocsparse_index_base_b
                                        ; -- End function
	.section	.AMDGPU.csdata,"",@progbits
; Kernel info:
; codeLenInByte = 1292
; NumSgprs: 18
; NumVgprs: 18
; ScratchSize: 0
; MemoryBound: 0
; FloatMode: 240
; IeeeMode: 1
; LDSByteSize: 4096 bytes/workgroup (compile time only)
; SGPRBlocks: 2
; VGPRBlocks: 2
; NumSGPRsForWavesPerEU: 18
; NumVGPRsForWavesPerEU: 18
; Occupancy: 16
; WaveLimiterHint : 0
; COMPUTE_PGM_RSRC2:SCRATCH_EN: 0
; COMPUTE_PGM_RSRC2:USER_SGPR: 15
; COMPUTE_PGM_RSRC2:TRAP_HANDLER: 0
; COMPUTE_PGM_RSRC2:TGID_X_EN: 1
; COMPUTE_PGM_RSRC2:TGID_Y_EN: 0
; COMPUTE_PGM_RSRC2:TGID_Z_EN: 0
; COMPUTE_PGM_RSRC2:TIDIG_COMP_CNT: 0
	.section	.text._ZN9rocsparseL23sddmm_ell_sample_kernelILi16ELi32E21rocsparse_complex_numIdEiS2_EEvT2_S3_PKT3_lS3_PS4_PKS3_21rocsparse_index_base_,"axG",@progbits,_ZN9rocsparseL23sddmm_ell_sample_kernelILi16ELi32E21rocsparse_complex_numIdEiS2_EEvT2_S3_PKT3_lS3_PS4_PKS3_21rocsparse_index_base_,comdat
	.globl	_ZN9rocsparseL23sddmm_ell_sample_kernelILi16ELi32E21rocsparse_complex_numIdEiS2_EEvT2_S3_PKT3_lS3_PS4_PKS3_21rocsparse_index_base_ ; -- Begin function _ZN9rocsparseL23sddmm_ell_sample_kernelILi16ELi32E21rocsparse_complex_numIdEiS2_EEvT2_S3_PKT3_lS3_PS4_PKS3_21rocsparse_index_base_
	.p2align	8
	.type	_ZN9rocsparseL23sddmm_ell_sample_kernelILi16ELi32E21rocsparse_complex_numIdEiS2_EEvT2_S3_PKT3_lS3_PS4_PKS3_21rocsparse_index_base_,@function
_ZN9rocsparseL23sddmm_ell_sample_kernelILi16ELi32E21rocsparse_complex_numIdEiS2_EEvT2_S3_PKT3_lS3_PS4_PKS3_21rocsparse_index_base_: ; @_ZN9rocsparseL23sddmm_ell_sample_kernelILi16ELi32E21rocsparse_complex_numIdEiS2_EEvT2_S3_PKT3_lS3_PS4_PKS3_21rocsparse_index_base_
; %bb.0:
	s_load_b32 s2, s[0:1], 0x18
	v_lshrrev_b32_e32 v1, 5, v0
	s_delay_alu instid0(VALU_DEP_1) | instskip(SKIP_1) | instid1(VALU_DEP_1)
	v_lshl_or_b32 v1, s15, 4, v1
	s_waitcnt lgkmcnt(0)
	v_cmp_gt_u32_e32 vcc_lo, s2, v1
	s_and_saveexec_b32 s2, vcc_lo
	s_cbranch_execz .LBB24_6
; %bb.1:
	s_load_b64 s[2:3], s[0:1], 0x0
	v_and_b32_e32 v4, 31, v0
	s_waitcnt lgkmcnt(0)
	s_delay_alu instid0(VALU_DEP_1)
	v_cmp_gt_i32_e32 vcc_lo, s2, v4
	s_and_b32 exec_lo, exec_lo, vcc_lo
	s_cbranch_execz .LBB24_6
; %bb.2:
	s_clause 0x2
	s_load_b128 s[8:11], s[0:1], 0x8
	s_load_b128 s[4:7], s[0:1], 0x20
	s_load_b32 s1, s[0:1], 0x30
	v_and_b32_e32 v0, 31, v0
	v_mul_lo_u32 v5, v1, s2
	s_delay_alu instid0(VALU_DEP_2) | instskip(SKIP_1) | instid1(VALU_DEP_1)
	v_dual_mov_b32 v1, 0 :: v_dual_lshlrev_b32 v0, 4, v0
	s_waitcnt lgkmcnt(0)
	v_add_co_u32 v2, s0, s8, v0
	s_delay_alu instid0(VALU_DEP_1)
	v_add_co_ci_u32_e64 v3, null, s9, 0, s0
	s_lshl_b64 s[8:9], s[10:11], 4
	s_mov_b32 s10, 0
	s_set_inst_prefetch_distance 0x1
	s_branch .LBB24_4
	.p2align	6
.LBB24_3:                               ;   in Loop: Header=BB24_4 Depth=1
	s_or_b32 exec_lo, exec_lo, s0
	v_add_nc_u32_e32 v4, 32, v4
	v_add_co_u32 v2, s0, 0x200, v2
	s_delay_alu instid0(VALU_DEP_1) | instskip(NEXT) | instid1(VALU_DEP_3)
	v_add_co_ci_u32_e64 v3, s0, 0, v3, s0
	v_cmp_le_i32_e32 vcc_lo, s2, v4
	s_or_b32 s10, vcc_lo, s10
	s_delay_alu instid0(SALU_CYCLE_1)
	s_and_not1_b32 exec_lo, exec_lo, s10
	s_cbranch_execz .LBB24_6
.LBB24_4:                               ; =>This Inner Loop Header: Depth=1
	v_add_nc_u32_e32 v0, v5, v4
	s_delay_alu instid0(VALU_DEP_1) | instskip(NEXT) | instid1(VALU_DEP_1)
	v_lshlrev_b64 v[6:7], 2, v[0:1]
	v_add_co_u32 v6, vcc_lo, s6, v6
	s_delay_alu instid0(VALU_DEP_2) | instskip(SKIP_3) | instid1(VALU_DEP_1)
	v_add_co_ci_u32_e32 v7, vcc_lo, s7, v7, vcc_lo
	global_load_b32 v6, v[6:7], off
	s_waitcnt vmcnt(0)
	v_subrev_nc_u32_e32 v6, s1, v6
	v_cmp_lt_i32_e32 vcc_lo, -1, v6
	v_cmp_gt_i32_e64 s0, s3, v6
	s_delay_alu instid0(VALU_DEP_1) | instskip(NEXT) | instid1(SALU_CYCLE_1)
	s_and_b32 s11, vcc_lo, s0
	s_and_saveexec_b32 s0, s11
	s_cbranch_execz .LBB24_3
; %bb.5:                                ;   in Loop: Header=BB24_4 Depth=1
	v_mad_u64_u32 v[7:8], null, s8, v6, v[2:3]
	s_delay_alu instid0(VALU_DEP_1) | instskip(SKIP_1) | instid1(VALU_DEP_1)
	v_mad_u64_u32 v[9:10], null, s9, v6, v[8:9]
	v_lshlrev_b64 v[10:11], 4, v[0:1]
	v_add_co_u32 v10, vcc_lo, s4, v10
	s_delay_alu instid0(VALU_DEP_3) | instskip(NEXT) | instid1(VALU_DEP_3)
	v_mov_b32_e32 v8, v9
	v_add_co_ci_u32_e32 v11, vcc_lo, s5, v11, vcc_lo
	global_load_b128 v[6:9], v[7:8], off
	s_waitcnt vmcnt(0)
	global_store_b128 v[10:11], v[6:9], off
	s_branch .LBB24_3
.LBB24_6:
	s_set_inst_prefetch_distance 0x2
	s_nop 0
	s_sendmsg sendmsg(MSG_DEALLOC_VGPRS)
	s_endpgm
	.section	.rodata,"a",@progbits
	.p2align	6, 0x0
	.amdhsa_kernel _ZN9rocsparseL23sddmm_ell_sample_kernelILi16ELi32E21rocsparse_complex_numIdEiS2_EEvT2_S3_PKT3_lS3_PS4_PKS3_21rocsparse_index_base_
		.amdhsa_group_segment_fixed_size 0
		.amdhsa_private_segment_fixed_size 0
		.amdhsa_kernarg_size 52
		.amdhsa_user_sgpr_count 15
		.amdhsa_user_sgpr_dispatch_ptr 0
		.amdhsa_user_sgpr_queue_ptr 0
		.amdhsa_user_sgpr_kernarg_segment_ptr 1
		.amdhsa_user_sgpr_dispatch_id 0
		.amdhsa_user_sgpr_private_segment_size 0
		.amdhsa_wavefront_size32 1
		.amdhsa_uses_dynamic_stack 0
		.amdhsa_enable_private_segment 0
		.amdhsa_system_sgpr_workgroup_id_x 1
		.amdhsa_system_sgpr_workgroup_id_y 0
		.amdhsa_system_sgpr_workgroup_id_z 0
		.amdhsa_system_sgpr_workgroup_info 0
		.amdhsa_system_vgpr_workitem_id 0
		.amdhsa_next_free_vgpr 12
		.amdhsa_next_free_sgpr 16
		.amdhsa_reserve_vcc 1
		.amdhsa_float_round_mode_32 0
		.amdhsa_float_round_mode_16_64 0
		.amdhsa_float_denorm_mode_32 3
		.amdhsa_float_denorm_mode_16_64 3
		.amdhsa_dx10_clamp 1
		.amdhsa_ieee_mode 1
		.amdhsa_fp16_overflow 0
		.amdhsa_workgroup_processor_mode 1
		.amdhsa_memory_ordered 1
		.amdhsa_forward_progress 0
		.amdhsa_shared_vgpr_count 0
		.amdhsa_exception_fp_ieee_invalid_op 0
		.amdhsa_exception_fp_denorm_src 0
		.amdhsa_exception_fp_ieee_div_zero 0
		.amdhsa_exception_fp_ieee_overflow 0
		.amdhsa_exception_fp_ieee_underflow 0
		.amdhsa_exception_fp_ieee_inexact 0
		.amdhsa_exception_int_div_zero 0
	.end_amdhsa_kernel
	.section	.text._ZN9rocsparseL23sddmm_ell_sample_kernelILi16ELi32E21rocsparse_complex_numIdEiS2_EEvT2_S3_PKT3_lS3_PS4_PKS3_21rocsparse_index_base_,"axG",@progbits,_ZN9rocsparseL23sddmm_ell_sample_kernelILi16ELi32E21rocsparse_complex_numIdEiS2_EEvT2_S3_PKT3_lS3_PS4_PKS3_21rocsparse_index_base_,comdat
.Lfunc_end24:
	.size	_ZN9rocsparseL23sddmm_ell_sample_kernelILi16ELi32E21rocsparse_complex_numIdEiS2_EEvT2_S3_PKT3_lS3_PS4_PKS3_21rocsparse_index_base_, .Lfunc_end24-_ZN9rocsparseL23sddmm_ell_sample_kernelILi16ELi32E21rocsparse_complex_numIdEiS2_EEvT2_S3_PKT3_lS3_PS4_PKS3_21rocsparse_index_base_
                                        ; -- End function
	.section	.AMDGPU.csdata,"",@progbits
; Kernel info:
; codeLenInByte = 380
; NumSgprs: 18
; NumVgprs: 12
; ScratchSize: 0
; MemoryBound: 0
; FloatMode: 240
; IeeeMode: 1
; LDSByteSize: 0 bytes/workgroup (compile time only)
; SGPRBlocks: 2
; VGPRBlocks: 1
; NumSGPRsForWavesPerEU: 18
; NumVGPRsForWavesPerEU: 12
; Occupancy: 16
; WaveLimiterHint : 0
; COMPUTE_PGM_RSRC2:SCRATCH_EN: 0
; COMPUTE_PGM_RSRC2:USER_SGPR: 15
; COMPUTE_PGM_RSRC2:TRAP_HANDLER: 0
; COMPUTE_PGM_RSRC2:TGID_X_EN: 1
; COMPUTE_PGM_RSRC2:TGID_Y_EN: 0
; COMPUTE_PGM_RSRC2:TGID_Z_EN: 0
; COMPUTE_PGM_RSRC2:TIDIG_COMP_CNT: 0
	.section	.text._ZN9rocsparseL23sddmm_ell_sample_kernelILi16ELi64E21rocsparse_complex_numIdEiS2_EEvT2_S3_PKT3_lS3_PS4_PKS3_21rocsparse_index_base_,"axG",@progbits,_ZN9rocsparseL23sddmm_ell_sample_kernelILi16ELi64E21rocsparse_complex_numIdEiS2_EEvT2_S3_PKT3_lS3_PS4_PKS3_21rocsparse_index_base_,comdat
	.globl	_ZN9rocsparseL23sddmm_ell_sample_kernelILi16ELi64E21rocsparse_complex_numIdEiS2_EEvT2_S3_PKT3_lS3_PS4_PKS3_21rocsparse_index_base_ ; -- Begin function _ZN9rocsparseL23sddmm_ell_sample_kernelILi16ELi64E21rocsparse_complex_numIdEiS2_EEvT2_S3_PKT3_lS3_PS4_PKS3_21rocsparse_index_base_
	.p2align	8
	.type	_ZN9rocsparseL23sddmm_ell_sample_kernelILi16ELi64E21rocsparse_complex_numIdEiS2_EEvT2_S3_PKT3_lS3_PS4_PKS3_21rocsparse_index_base_,@function
_ZN9rocsparseL23sddmm_ell_sample_kernelILi16ELi64E21rocsparse_complex_numIdEiS2_EEvT2_S3_PKT3_lS3_PS4_PKS3_21rocsparse_index_base_: ; @_ZN9rocsparseL23sddmm_ell_sample_kernelILi16ELi64E21rocsparse_complex_numIdEiS2_EEvT2_S3_PKT3_lS3_PS4_PKS3_21rocsparse_index_base_
; %bb.0:
	s_load_b32 s2, s[0:1], 0x18
	v_lshrrev_b32_e32 v1, 6, v0
	s_delay_alu instid0(VALU_DEP_1) | instskip(SKIP_1) | instid1(VALU_DEP_1)
	v_lshl_or_b32 v1, s15, 4, v1
	s_waitcnt lgkmcnt(0)
	v_cmp_gt_u32_e32 vcc_lo, s2, v1
	s_and_saveexec_b32 s2, vcc_lo
	s_cbranch_execz .LBB25_6
; %bb.1:
	s_load_b64 s[2:3], s[0:1], 0x0
	v_and_b32_e32 v4, 63, v0
	s_waitcnt lgkmcnt(0)
	s_delay_alu instid0(VALU_DEP_1)
	v_cmp_gt_i32_e32 vcc_lo, s2, v4
	s_and_b32 exec_lo, exec_lo, vcc_lo
	s_cbranch_execz .LBB25_6
; %bb.2:
	s_clause 0x2
	s_load_b128 s[8:11], s[0:1], 0x8
	s_load_b128 s[4:7], s[0:1], 0x20
	s_load_b32 s1, s[0:1], 0x30
	v_and_b32_e32 v0, 63, v0
	v_mul_lo_u32 v5, v1, s2
	s_delay_alu instid0(VALU_DEP_2) | instskip(SKIP_1) | instid1(VALU_DEP_1)
	v_dual_mov_b32 v1, 0 :: v_dual_lshlrev_b32 v0, 4, v0
	s_waitcnt lgkmcnt(0)
	v_add_co_u32 v2, s0, s8, v0
	s_delay_alu instid0(VALU_DEP_1)
	v_add_co_ci_u32_e64 v3, null, s9, 0, s0
	s_lshl_b64 s[8:9], s[10:11], 4
	s_mov_b32 s10, 0
	s_set_inst_prefetch_distance 0x1
	s_branch .LBB25_4
	.p2align	6
.LBB25_3:                               ;   in Loop: Header=BB25_4 Depth=1
	s_or_b32 exec_lo, exec_lo, s0
	v_add_nc_u32_e32 v4, 64, v4
	v_add_co_u32 v2, s0, 0x400, v2
	s_delay_alu instid0(VALU_DEP_1) | instskip(NEXT) | instid1(VALU_DEP_3)
	v_add_co_ci_u32_e64 v3, s0, 0, v3, s0
	v_cmp_le_i32_e32 vcc_lo, s2, v4
	s_or_b32 s10, vcc_lo, s10
	s_delay_alu instid0(SALU_CYCLE_1)
	s_and_not1_b32 exec_lo, exec_lo, s10
	s_cbranch_execz .LBB25_6
.LBB25_4:                               ; =>This Inner Loop Header: Depth=1
	v_add_nc_u32_e32 v0, v5, v4
	s_delay_alu instid0(VALU_DEP_1) | instskip(NEXT) | instid1(VALU_DEP_1)
	v_lshlrev_b64 v[6:7], 2, v[0:1]
	v_add_co_u32 v6, vcc_lo, s6, v6
	s_delay_alu instid0(VALU_DEP_2) | instskip(SKIP_3) | instid1(VALU_DEP_1)
	v_add_co_ci_u32_e32 v7, vcc_lo, s7, v7, vcc_lo
	global_load_b32 v6, v[6:7], off
	s_waitcnt vmcnt(0)
	v_subrev_nc_u32_e32 v6, s1, v6
	v_cmp_lt_i32_e32 vcc_lo, -1, v6
	v_cmp_gt_i32_e64 s0, s3, v6
	s_delay_alu instid0(VALU_DEP_1) | instskip(NEXT) | instid1(SALU_CYCLE_1)
	s_and_b32 s11, vcc_lo, s0
	s_and_saveexec_b32 s0, s11
	s_cbranch_execz .LBB25_3
; %bb.5:                                ;   in Loop: Header=BB25_4 Depth=1
	v_mad_u64_u32 v[7:8], null, s8, v6, v[2:3]
	s_delay_alu instid0(VALU_DEP_1) | instskip(SKIP_1) | instid1(VALU_DEP_1)
	v_mad_u64_u32 v[9:10], null, s9, v6, v[8:9]
	v_lshlrev_b64 v[10:11], 4, v[0:1]
	v_add_co_u32 v10, vcc_lo, s4, v10
	s_delay_alu instid0(VALU_DEP_3) | instskip(NEXT) | instid1(VALU_DEP_3)
	v_mov_b32_e32 v8, v9
	v_add_co_ci_u32_e32 v11, vcc_lo, s5, v11, vcc_lo
	global_load_b128 v[6:9], v[7:8], off
	s_waitcnt vmcnt(0)
	global_store_b128 v[10:11], v[6:9], off
	s_branch .LBB25_3
.LBB25_6:
	s_set_inst_prefetch_distance 0x2
	s_nop 0
	s_sendmsg sendmsg(MSG_DEALLOC_VGPRS)
	s_endpgm
	.section	.rodata,"a",@progbits
	.p2align	6, 0x0
	.amdhsa_kernel _ZN9rocsparseL23sddmm_ell_sample_kernelILi16ELi64E21rocsparse_complex_numIdEiS2_EEvT2_S3_PKT3_lS3_PS4_PKS3_21rocsparse_index_base_
		.amdhsa_group_segment_fixed_size 0
		.amdhsa_private_segment_fixed_size 0
		.amdhsa_kernarg_size 52
		.amdhsa_user_sgpr_count 15
		.amdhsa_user_sgpr_dispatch_ptr 0
		.amdhsa_user_sgpr_queue_ptr 0
		.amdhsa_user_sgpr_kernarg_segment_ptr 1
		.amdhsa_user_sgpr_dispatch_id 0
		.amdhsa_user_sgpr_private_segment_size 0
		.amdhsa_wavefront_size32 1
		.amdhsa_uses_dynamic_stack 0
		.amdhsa_enable_private_segment 0
		.amdhsa_system_sgpr_workgroup_id_x 1
		.amdhsa_system_sgpr_workgroup_id_y 0
		.amdhsa_system_sgpr_workgroup_id_z 0
		.amdhsa_system_sgpr_workgroup_info 0
		.amdhsa_system_vgpr_workitem_id 0
		.amdhsa_next_free_vgpr 12
		.amdhsa_next_free_sgpr 16
		.amdhsa_reserve_vcc 1
		.amdhsa_float_round_mode_32 0
		.amdhsa_float_round_mode_16_64 0
		.amdhsa_float_denorm_mode_32 3
		.amdhsa_float_denorm_mode_16_64 3
		.amdhsa_dx10_clamp 1
		.amdhsa_ieee_mode 1
		.amdhsa_fp16_overflow 0
		.amdhsa_workgroup_processor_mode 1
		.amdhsa_memory_ordered 1
		.amdhsa_forward_progress 0
		.amdhsa_shared_vgpr_count 0
		.amdhsa_exception_fp_ieee_invalid_op 0
		.amdhsa_exception_fp_denorm_src 0
		.amdhsa_exception_fp_ieee_div_zero 0
		.amdhsa_exception_fp_ieee_overflow 0
		.amdhsa_exception_fp_ieee_underflow 0
		.amdhsa_exception_fp_ieee_inexact 0
		.amdhsa_exception_int_div_zero 0
	.end_amdhsa_kernel
	.section	.text._ZN9rocsparseL23sddmm_ell_sample_kernelILi16ELi64E21rocsparse_complex_numIdEiS2_EEvT2_S3_PKT3_lS3_PS4_PKS3_21rocsparse_index_base_,"axG",@progbits,_ZN9rocsparseL23sddmm_ell_sample_kernelILi16ELi64E21rocsparse_complex_numIdEiS2_EEvT2_S3_PKT3_lS3_PS4_PKS3_21rocsparse_index_base_,comdat
.Lfunc_end25:
	.size	_ZN9rocsparseL23sddmm_ell_sample_kernelILi16ELi64E21rocsparse_complex_numIdEiS2_EEvT2_S3_PKT3_lS3_PS4_PKS3_21rocsparse_index_base_, .Lfunc_end25-_ZN9rocsparseL23sddmm_ell_sample_kernelILi16ELi64E21rocsparse_complex_numIdEiS2_EEvT2_S3_PKT3_lS3_PS4_PKS3_21rocsparse_index_base_
                                        ; -- End function
	.section	.AMDGPU.csdata,"",@progbits
; Kernel info:
; codeLenInByte = 380
; NumSgprs: 18
; NumVgprs: 12
; ScratchSize: 0
; MemoryBound: 0
; FloatMode: 240
; IeeeMode: 1
; LDSByteSize: 0 bytes/workgroup (compile time only)
; SGPRBlocks: 2
; VGPRBlocks: 1
; NumSGPRsForWavesPerEU: 18
; NumVGPRsForWavesPerEU: 12
; Occupancy: 16
; WaveLimiterHint : 0
; COMPUTE_PGM_RSRC2:SCRATCH_EN: 0
; COMPUTE_PGM_RSRC2:USER_SGPR: 15
; COMPUTE_PGM_RSRC2:TRAP_HANDLER: 0
; COMPUTE_PGM_RSRC2:TGID_X_EN: 1
; COMPUTE_PGM_RSRC2:TGID_Y_EN: 0
; COMPUTE_PGM_RSRC2:TGID_Z_EN: 0
; COMPUTE_PGM_RSRC2:TIDIG_COMP_CNT: 0
	.section	.text._ZN9rocsparseL16sddmm_ell_kernelILi512ELi8E21rocsparse_complex_numIdEiiS2_S2_S2_EEv20rocsparse_operation_S3_16rocsparse_order_S4_T3_S5_S5_T2_NS_24const_host_device_scalarIT1_EEPKT4_lPKT5_lS9_PT6_PKS5_21rocsparse_index_base_b,"axG",@progbits,_ZN9rocsparseL16sddmm_ell_kernelILi512ELi8E21rocsparse_complex_numIdEiiS2_S2_S2_EEv20rocsparse_operation_S3_16rocsparse_order_S4_T3_S5_S5_T2_NS_24const_host_device_scalarIT1_EEPKT4_lPKT5_lS9_PT6_PKS5_21rocsparse_index_base_b,comdat
	.globl	_ZN9rocsparseL16sddmm_ell_kernelILi512ELi8E21rocsparse_complex_numIdEiiS2_S2_S2_EEv20rocsparse_operation_S3_16rocsparse_order_S4_T3_S5_S5_T2_NS_24const_host_device_scalarIT1_EEPKT4_lPKT5_lS9_PT6_PKS5_21rocsparse_index_base_b ; -- Begin function _ZN9rocsparseL16sddmm_ell_kernelILi512ELi8E21rocsparse_complex_numIdEiiS2_S2_S2_EEv20rocsparse_operation_S3_16rocsparse_order_S4_T3_S5_S5_T2_NS_24const_host_device_scalarIT1_EEPKT4_lPKT5_lS9_PT6_PKS5_21rocsparse_index_base_b
	.p2align	8
	.type	_ZN9rocsparseL16sddmm_ell_kernelILi512ELi8E21rocsparse_complex_numIdEiiS2_S2_S2_EEv20rocsparse_operation_S3_16rocsparse_order_S4_T3_S5_S5_T2_NS_24const_host_device_scalarIT1_EEPKT4_lPKT5_lS9_PT6_PKS5_21rocsparse_index_base_b,@function
_ZN9rocsparseL16sddmm_ell_kernelILi512ELi8E21rocsparse_complex_numIdEiiS2_S2_S2_EEv20rocsparse_operation_S3_16rocsparse_order_S4_T3_S5_S5_T2_NS_24const_host_device_scalarIT1_EEPKT4_lPKT5_lS9_PT6_PKS5_21rocsparse_index_base_b: ; @_ZN9rocsparseL16sddmm_ell_kernelILi512ELi8E21rocsparse_complex_numIdEiiS2_S2_S2_EEv20rocsparse_operation_S3_16rocsparse_order_S4_T3_S5_S5_T2_NS_24const_host_device_scalarIT1_EEPKT4_lPKT5_lS9_PT6_PKS5_21rocsparse_index_base_b
; %bb.0:
	s_clause 0x1
	s_load_b64 s[12:13], s[2:3], 0x70
	s_load_b128 s[8:11], s[2:3], 0x20
	s_load_b64 s[16:17], s[0:1], 0x4
	s_mov_b64 s[0:1], src_shared_base
	v_and_b32_e32 v19, 0x3ff, v0
	s_load_b128 s[4:7], s[2:3], 0x48
	v_bfe_u32 v2, v0, 10, 10
	v_bfe_u32 v0, v0, 20, 10
	s_waitcnt lgkmcnt(0)
	s_bitcmp1_b32 s13, 0
	s_cselect_b32 s0, -1, 0
	s_delay_alu instid0(SALU_CYCLE_1) | instskip(SKIP_2) | instid1(SALU_CYCLE_1)
	s_and_b32 vcc_lo, s0, exec_lo
	s_cselect_b32 s13, s1, s9
	s_lshr_b32 s14, s16, 16
	s_mul_i32 s14, s14, s17
	s_delay_alu instid0(SALU_CYCLE_1) | instskip(NEXT) | instid1(VALU_DEP_1)
	v_mul_lo_u32 v1, s14, v19
	v_mad_u32_u24 v1, v2, s17, v1
	s_load_b64 s[16:17], s[2:3], 0x58
	v_dual_mov_b32 v2, s6 :: v_dual_mov_b32 v3, s7
	s_delay_alu instid0(VALU_DEP_2) | instskip(SKIP_1) | instid1(VALU_DEP_2)
	v_add_lshl_u32 v6, v1, v0, 3
	v_dual_mov_b32 v0, s8 :: v_dual_mov_b32 v5, s13
	v_dual_mov_b32 v1, s9 :: v_dual_add_nc_u32 v4, 0x3000, v6
	ds_store_2addr_stride64_b64 v6, v[2:3], v[0:1] offset0:16 offset1:24
	v_add_nc_u32_e32 v0, 0x2000, v6
	v_cndmask_b32_e64 v4, s8, v4, s0
	v_dual_mov_b32 v6, s10 :: v_dual_mov_b32 v7, s11
	s_xor_b32 s10, s0, -1
	flat_load_b64 v[4:5], v[4:5]
	s_cbranch_vccnz .LBB26_2
; %bb.1:
	v_dual_mov_b32 v1, s8 :: v_dual_mov_b32 v2, s9
	flat_load_b64 v[6:7], v[1:2] offset:8
.LBB26_2:
	s_and_b32 s8, s0, exec_lo
	s_cselect_b32 s1, s1, s7
	v_cndmask_b32_e64 v0, s6, v0, s0
	s_waitcnt lgkmcnt(0)
	v_dual_mov_b32 v1, s1 :: v_dual_mov_b32 v10, s16
	v_mov_b32_e32 v11, s17
	s_and_not1_b32 vcc_lo, exec_lo, s10
	flat_load_b64 v[8:9], v[0:1]
	s_cbranch_vccnz .LBB26_4
; %bb.3:
	v_dual_mov_b32 v0, s6 :: v_dual_mov_b32 v1, s7
	flat_load_b64 v[10:11], v[0:1] offset:8
.LBB26_4:
	s_waitcnt vmcnt(1)
	v_cmp_eq_f64_e32 vcc_lo, 0, v[4:5]
	v_cmp_eq_f64_e64 s0, 0, v[6:7]
	s_delay_alu instid0(VALU_DEP_1)
	s_and_b32 s6, vcc_lo, s0
	s_mov_b32 s0, -1
	s_and_saveexec_b32 s1, s6
	s_cbranch_execz .LBB26_6
; %bb.5:
	s_waitcnt vmcnt(0) lgkmcnt(0)
	v_cmp_neq_f64_e32 vcc_lo, 1.0, v[8:9]
	v_cmp_neq_f64_e64 s0, 0, v[10:11]
	s_delay_alu instid0(VALU_DEP_1) | instskip(NEXT) | instid1(SALU_CYCLE_1)
	s_or_b32 s0, vcc_lo, s0
	s_or_not1_b32 s0, s0, exec_lo
.LBB26_6:
	s_or_b32 exec_lo, exec_lo, s1
	s_and_saveexec_b32 s1, s0
	s_cbranch_execz .LBB26_37
; %bb.7:
	s_load_b64 s[6:7], s[2:3], 0x18
	v_lshrrev_b32_e32 v18, 3, v19
	s_delay_alu instid0(VALU_DEP_1) | instskip(SKIP_1) | instid1(VALU_DEP_1)
	v_lshl_or_b32 v12, s15, 6, v18
	s_waitcnt lgkmcnt(0)
	v_cmp_gt_i32_e32 vcc_lo, s7, v12
	s_and_b32 exec_lo, exec_lo, vcc_lo
	s_cbranch_execz .LBB26_37
; %bb.8:
	s_load_b64 s[0:1], s[2:3], 0x68
	v_ashrrev_i32_e32 v13, 31, v12
	s_mov_b32 s13, -1
	s_delay_alu instid0(VALU_DEP_1) | instskip(SKIP_1) | instid1(VALU_DEP_1)
	v_lshlrev_b64 v[0:1], 2, v[12:13]
	s_waitcnt lgkmcnt(0)
	v_add_co_u32 v0, vcc_lo, s0, v0
	s_delay_alu instid0(VALU_DEP_2) | instskip(SKIP_3) | instid1(VALU_DEP_1)
	v_add_co_ci_u32_e32 v1, vcc_lo, s1, v1, vcc_lo
	global_load_b32 v0, v[0:1], off
	s_waitcnt vmcnt(0)
	v_subrev_nc_u32_e32 v0, s12, v0
	v_cmp_lt_i32_e32 vcc_lo, -1, v0
	s_and_b32 exec_lo, exec_lo, vcc_lo
	s_cbranch_execz .LBB26_37
; %bb.9:
	s_clause 0x1
	s_load_b128 s[8:11], s[2:3], 0x0
	s_load_b32 s0, s[2:3], 0x10
	v_sub_nc_u32_e32 v3, 0, v12
	s_waitcnt lgkmcnt(0)
	s_cmp_eq_u32 s10, 1
	s_cselect_b32 s7, -1, 0
	s_cmpk_eq_i32 s8, 0x6f
	s_cselect_b32 s12, -1, 0
	s_cmpk_lg_i32 s8, 0x6f
	s_cselect_b32 s8, -1, 0
	s_abs_i32 s14, s0
	s_delay_alu instid0(SALU_CYCLE_1) | instskip(SKIP_2) | instid1(VALU_DEP_1)
	v_cvt_f32_u32_e32 v1, s14
	s_sub_i32 s0, 0, s14
	s_cmp_lg_u32 s10, 1
	v_rcp_iflag_f32_e32 v1, v1
	s_waitcnt_depctr 0xfff
	v_mul_f32_e32 v1, 0x4f7ffffe, v1
	s_delay_alu instid0(VALU_DEP_1) | instskip(NEXT) | instid1(VALU_DEP_1)
	v_cvt_u32_f32_e32 v1, v1
	v_mul_lo_u32 v2, s0, v1
	s_load_b64 s[0:1], s[2:3], 0x38
	s_delay_alu instid0(VALU_DEP_1) | instskip(NEXT) | instid1(VALU_DEP_1)
	v_mul_hi_u32 v2, v1, v2
	v_add_nc_u32_e32 v1, v1, v2
	v_max_i32_e32 v2, v12, v3
	s_delay_alu instid0(VALU_DEP_1) | instskip(NEXT) | instid1(VALU_DEP_1)
	v_mul_hi_u32 v1, v2, v1
	v_mul_lo_u32 v1, v1, s14
	s_delay_alu instid0(VALU_DEP_1) | instskip(NEXT) | instid1(VALU_DEP_1)
	v_sub_nc_u32_e32 v1, v2, v1
	v_subrev_nc_u32_e32 v2, s14, v1
	v_cmp_le_u32_e32 vcc_lo, s14, v1
	s_delay_alu instid0(VALU_DEP_2) | instskip(NEXT) | instid1(VALU_DEP_1)
	v_cndmask_b32_e32 v1, v1, v2, vcc_lo
	v_subrev_nc_u32_e32 v2, s14, v1
	v_cmp_le_u32_e32 vcc_lo, s14, v1
	s_delay_alu instid0(VALU_DEP_2) | instskip(NEXT) | instid1(VALU_DEP_1)
	v_cndmask_b32_e32 v1, v1, v2, vcc_lo
	v_xor_b32_e32 v1, v1, v13
	s_delay_alu instid0(VALU_DEP_1) | instskip(NEXT) | instid1(VALU_DEP_1)
	v_sub_nc_u32_e32 v1, v1, v13
	v_ashrrev_i32_e32 v2, 31, v1
	s_cbranch_scc0 .LBB26_13
; %bb.10:
	s_delay_alu instid0(VALU_DEP_1)
	v_dual_mov_b32 v15, v2 :: v_dual_mov_b32 v14, v1
	s_and_not1_b32 vcc_lo, exec_lo, s12
	s_cbranch_vccnz .LBB26_12
; %bb.11:
	s_waitcnt lgkmcnt(0)
	v_mul_lo_u32 v3, v2, s0
	v_mul_lo_u32 v16, v1, s1
	v_mad_u64_u32 v[14:15], null, v1, s0, 0
	s_delay_alu instid0(VALU_DEP_1)
	v_add3_u32 v15, v15, v16, v3
.LBB26_12:
	s_cbranch_execz .LBB26_14
	s_branch .LBB26_17
.LBB26_13:
                                        ; implicit-def: $vgpr14_vgpr15
	s_and_not1_b32 vcc_lo, exec_lo, s13
	s_cbranch_vccnz .LBB26_17
.LBB26_14:
	s_and_not1_b32 vcc_lo, exec_lo, s8
	s_cbranch_vccnz .LBB26_16
; %bb.15:
	s_waitcnt lgkmcnt(0)
	v_mul_lo_u32 v14, v2, s0
	v_mul_lo_u32 v15, v1, s1
	v_mad_u64_u32 v[2:3], null, v1, s0, 0
	s_delay_alu instid0(VALU_DEP_1) | instskip(NEXT) | instid1(VALU_DEP_2)
	v_add3_u32 v3, v3, v15, v14
	v_mov_b32_e32 v1, v2
	s_delay_alu instid0(VALU_DEP_2)
	v_mov_b32_e32 v2, v3
.LBB26_16:
	s_delay_alu instid0(VALU_DEP_1)
	v_dual_mov_b32 v15, v2 :: v_dual_mov_b32 v14, v1
.LBB26_17:
	s_cmp_eq_u32 s11, 1
	v_mov_b32_e32 v1, 0
	s_cselect_b32 s13, -1, 0
	s_cmpk_eq_i32 s9, 0x6f
	s_cselect_b32 s14, -1, 0
	s_cmpk_lg_i32 s9, 0x6f
	s_cselect_b32 s8, -1, 0
	s_cmp_lg_u32 s11, 1
	s_cbranch_scc0 .LBB26_21
; %bb.18:
	v_dual_mov_b32 v17, v1 :: v_dual_mov_b32 v16, v0
	s_and_not1_b32 vcc_lo, exec_lo, s8
	s_cbranch_vccnz .LBB26_20
; %bb.19:
	v_mad_u64_u32 v[16:17], null, v0, s4, 0
	s_delay_alu instid0(VALU_DEP_1) | instskip(NEXT) | instid1(VALU_DEP_1)
	v_mov_b32_e32 v2, v17
	v_mad_u64_u32 v[20:21], null, v0, s5, v[2:3]
	s_delay_alu instid0(VALU_DEP_1)
	v_mov_b32_e32 v17, v20
.LBB26_20:
	s_cbranch_execz .LBB26_22
	s_branch .LBB26_25
.LBB26_21:
                                        ; implicit-def: $vgpr16_vgpr17
.LBB26_22:
	s_and_not1_b32 vcc_lo, exec_lo, s14
	s_cbranch_vccnz .LBB26_24
; %bb.23:
	v_mad_u64_u32 v[1:2], null, v0, s4, 0
	s_delay_alu instid0(VALU_DEP_1) | instskip(NEXT) | instid1(VALU_DEP_1)
	v_mad_u64_u32 v[16:17], null, v0, s5, v[2:3]
	v_mov_b32_e32 v2, v16
	s_delay_alu instid0(VALU_DEP_3) | instskip(NEXT) | instid1(VALU_DEP_2)
	v_mov_b32_e32 v0, v1
	v_mov_b32_e32 v1, v2
.LBB26_24:
	s_delay_alu instid0(VALU_DEP_1)
	v_dual_mov_b32 v17, v1 :: v_dual_mov_b32 v16, v0
.LBB26_25:
	s_load_b64 s[8:9], s[2:3], 0x60
	v_mov_b32_e32 v2, 0
	v_dual_mov_b32 v3, 0 :: v_dual_and_b32 v20, 7, v19
	s_delay_alu instid0(VALU_DEP_2) | instskip(SKIP_1) | instid1(VALU_DEP_2)
	v_mov_b32_e32 v0, v2
	s_mov_b32 s10, exec_lo
	v_mov_b32_e32 v1, v3
	s_delay_alu instid0(VALU_DEP_3)
	v_cmpx_gt_i32_e64 s6, v20
	s_cbranch_execz .LBB26_29
; %bb.26:
	s_xor_b32 s7, s12, s7
	v_and_b32_e32 v3, 7, v19
	s_and_b32 s7, s7, exec_lo
	s_waitcnt lgkmcnt(0)
	s_cselect_b32 s16, 1, s0
	s_cselect_b32 s17, 0, s1
	s_xor_b32 s0, s14, s13
	v_mad_u64_u32 v[21:22], null, s16, v3, 0
	s_and_b32 s0, s0, exec_lo
	s_cselect_b32 s4, s4, 1
	s_cselect_b32 s5, s5, 0
	s_clause 0x1
	s_load_b64 s[0:1], s[2:3], 0x40
	s_load_b64 s[2:3], s[2:3], 0x30
	v_lshlrev_b64 v[16:17], 4, v[16:17]
	v_mov_b32_e32 v2, v22
	v_mad_u64_u32 v[0:1], null, s4, v3, 0
	v_lshlrev_b64 v[14:15], 4, v[14:15]
	v_mov_b32_e32 v19, v20
	s_delay_alu instid0(VALU_DEP_3) | instskip(SKIP_3) | instid1(VALU_DEP_3)
	v_mad_u64_u32 v[22:23], null, s5, v3, v[1:2]
	v_mad_u64_u32 v[23:24], null, s17, v3, v[2:3]
	v_mov_b32_e32 v2, 0
	v_mov_b32_e32 v3, 0
	v_dual_mov_b32 v1, v22 :: v_dual_mov_b32 v22, v23
	s_delay_alu instid0(VALU_DEP_1) | instskip(NEXT) | instid1(VALU_DEP_2)
	v_lshlrev_b64 v[0:1], 4, v[0:1]
	v_lshlrev_b64 v[21:22], 4, v[21:22]
	s_delay_alu instid0(VALU_DEP_2) | instskip(NEXT) | instid1(VALU_DEP_3)
	v_add_co_u32 v0, vcc_lo, v0, v16
	v_add_co_ci_u32_e32 v1, vcc_lo, v1, v17, vcc_lo
	s_delay_alu instid0(VALU_DEP_3) | instskip(NEXT) | instid1(VALU_DEP_4)
	v_add_co_u32 v14, vcc_lo, v21, v14
	v_add_co_ci_u32_e32 v15, vcc_lo, v22, v15, vcc_lo
	s_waitcnt lgkmcnt(0)
	v_add_co_u32 v0, vcc_lo, v0, s0
	v_add_co_ci_u32_e32 v1, vcc_lo, s1, v1, vcc_lo
	v_add_co_u32 v16, vcc_lo, v14, s2
	v_add_co_ci_u32_e32 v17, vcc_lo, s3, v15, vcc_lo
	s_delay_alu instid0(VALU_DEP_4) | instskip(NEXT) | instid1(VALU_DEP_4)
	v_add_co_u32 v14, vcc_lo, v0, 8
	v_add_co_ci_u32_e32 v15, vcc_lo, 0, v1, vcc_lo
	s_delay_alu instid0(VALU_DEP_4) | instskip(NEXT) | instid1(VALU_DEP_4)
	v_add_co_u32 v16, vcc_lo, v16, 8
	v_add_co_ci_u32_e32 v17, vcc_lo, 0, v17, vcc_lo
	v_dual_mov_b32 v0, v2 :: v_dual_mov_b32 v1, v3
	s_mov_b32 s1, 0
	s_lshl_b64 s[2:3], s[4:5], 7
	s_lshl_b64 s[4:5], s[16:17], 7
	.p2align	6
.LBB26_27:                              ; =>This Inner Loop Header: Depth=1
	global_load_b128 v[21:24], v[14:15], off offset:-8
	global_load_b128 v[25:28], v[16:17], off offset:-8
	v_add_nc_u32_e32 v19, 8, v19
	v_add_co_u32 v14, vcc_lo, v14, s2
	v_add_co_ci_u32_e32 v15, vcc_lo, s3, v15, vcc_lo
	s_delay_alu instid0(VALU_DEP_3) | instskip(SKIP_1) | instid1(VALU_DEP_1)
	v_cmp_le_i32_e32 vcc_lo, s6, v19
	v_add_co_u32 v16, s0, v16, s4
	v_add_co_ci_u32_e64 v17, s0, s5, v17, s0
	s_or_b32 s1, vcc_lo, s1
	s_waitcnt vmcnt(0)
	v_mul_f64 v[29:30], v[23:24], -v[27:28]
	v_mul_f64 v[23:24], v[23:24], v[25:26]
	s_delay_alu instid0(VALU_DEP_2) | instskip(NEXT) | instid1(VALU_DEP_2)
	v_fma_f64 v[25:26], v[25:26], v[21:22], v[29:30]
	v_fma_f64 v[21:22], v[27:28], v[21:22], v[23:24]
	s_delay_alu instid0(VALU_DEP_2) | instskip(NEXT) | instid1(VALU_DEP_2)
	v_add_f64 v[0:1], v[0:1], v[25:26]
	v_add_f64 v[2:3], v[2:3], v[21:22]
	s_and_not1_b32 exec_lo, exec_lo, s1
	s_cbranch_execnz .LBB26_27
; %bb.28:
	s_or_b32 exec_lo, exec_lo, s1
.LBB26_29:
	s_delay_alu instid0(SALU_CYCLE_1) | instskip(SKIP_3) | instid1(VALU_DEP_1)
	s_or_b32 exec_lo, exec_lo, s10
	v_lshlrev_b32_e32 v14, 4, v20
	s_waitcnt lgkmcnt(0)
	s_mov_b32 s0, exec_lo
	v_lshl_or_b32 v14, v18, 7, v14
	ds_store_b128 v14, v[0:3]
	s_waitcnt lgkmcnt(0)
	s_barrier
	buffer_gl0_inv
	v_cmpx_gt_u32_e32 4, v20
	s_cbranch_execz .LBB26_31
; %bb.30:
	ds_load_b128 v[0:3], v14 offset:64
	ds_load_b128 v[21:24], v14
	s_waitcnt lgkmcnt(0)
	v_add_f64 v[0:1], v[0:1], v[21:22]
	v_add_f64 v[2:3], v[2:3], v[23:24]
	ds_store_b128 v14, v[0:3]
.LBB26_31:
	s_or_b32 exec_lo, exec_lo, s0
	s_delay_alu instid0(SALU_CYCLE_1)
	s_mov_b32 s0, exec_lo
	s_waitcnt lgkmcnt(0)
	s_barrier
	buffer_gl0_inv
	v_cmpx_gt_u32_e32 2, v20
	s_cbranch_execz .LBB26_33
; %bb.32:
	ds_load_b128 v[0:3], v14
	ds_load_b128 v[21:24], v14 offset:32
	s_waitcnt lgkmcnt(0)
	v_add_f64 v[0:1], v[21:22], v[0:1]
	v_add_f64 v[2:3], v[23:24], v[2:3]
	ds_store_b128 v14, v[0:3]
.LBB26_33:
	s_or_b32 exec_lo, exec_lo, s0
	v_cmp_eq_u32_e32 vcc_lo, 0, v20
	v_lshlrev_b32_e32 v0, 7, v18
	s_waitcnt lgkmcnt(0)
	s_barrier
	buffer_gl0_inv
	s_and_saveexec_b32 s0, vcc_lo
	s_cbranch_execz .LBB26_35
; %bb.34:
	ds_load_b128 v[15:18], v0 offset:16
	ds_load_b128 v[19:22], v14
	s_waitcnt lgkmcnt(0)
	v_add_f64 v[15:16], v[15:16], v[19:20]
	v_add_f64 v[17:18], v[17:18], v[21:22]
	ds_store_b128 v14, v[15:18]
.LBB26_35:
	s_or_b32 exec_lo, exec_lo, s0
	s_waitcnt lgkmcnt(0)
	s_barrier
	buffer_gl0_inv
	s_and_b32 exec_lo, exec_lo, vcc_lo
	s_cbranch_execz .LBB26_37
; %bb.36:
	v_lshlrev_b64 v[1:2], 4, v[12:13]
	s_delay_alu instid0(VALU_DEP_1) | instskip(NEXT) | instid1(VALU_DEP_2)
	v_add_co_u32 v16, vcc_lo, s8, v1
	v_add_co_ci_u32_e32 v17, vcc_lo, s9, v2, vcc_lo
	ds_load_b128 v[0:3], v0
	global_load_b128 v[12:15], v[16:17], off
	s_waitcnt lgkmcnt(0)
	v_mul_f64 v[18:19], v[2:3], -v[6:7]
	v_mul_f64 v[2:3], v[4:5], v[2:3]
	s_delay_alu instid0(VALU_DEP_2) | instskip(NEXT) | instid1(VALU_DEP_2)
	v_fma_f64 v[4:5], v[4:5], v[0:1], v[18:19]
	v_fma_f64 v[2:3], v[6:7], v[0:1], v[2:3]
	s_waitcnt vmcnt(0)
	v_mul_f64 v[20:21], v[10:11], -v[14:15]
	v_mul_f64 v[10:11], v[10:11], v[12:13]
	s_delay_alu instid0(VALU_DEP_2) | instskip(NEXT) | instid1(VALU_DEP_2)
	v_fma_f64 v[0:1], v[12:13], v[8:9], v[20:21]
	v_fma_f64 v[6:7], v[14:15], v[8:9], v[10:11]
	s_delay_alu instid0(VALU_DEP_2) | instskip(NEXT) | instid1(VALU_DEP_2)
	v_add_f64 v[0:1], v[0:1], v[4:5]
	v_add_f64 v[2:3], v[6:7], v[2:3]
	global_store_b128 v[16:17], v[0:3], off
.LBB26_37:
	s_nop 0
	s_sendmsg sendmsg(MSG_DEALLOC_VGPRS)
	s_endpgm
	.section	.rodata,"a",@progbits
	.p2align	6, 0x0
	.amdhsa_kernel _ZN9rocsparseL16sddmm_ell_kernelILi512ELi8E21rocsparse_complex_numIdEiiS2_S2_S2_EEv20rocsparse_operation_S3_16rocsparse_order_S4_T3_S5_S5_T2_NS_24const_host_device_scalarIT1_EEPKT4_lPKT5_lS9_PT6_PKS5_21rocsparse_index_base_b
		.amdhsa_group_segment_fixed_size 16384
		.amdhsa_private_segment_fixed_size 0
		.amdhsa_kernarg_size 120
		.amdhsa_user_sgpr_count 15
		.amdhsa_user_sgpr_dispatch_ptr 1
		.amdhsa_user_sgpr_queue_ptr 0
		.amdhsa_user_sgpr_kernarg_segment_ptr 1
		.amdhsa_user_sgpr_dispatch_id 0
		.amdhsa_user_sgpr_private_segment_size 0
		.amdhsa_wavefront_size32 1
		.amdhsa_uses_dynamic_stack 0
		.amdhsa_enable_private_segment 0
		.amdhsa_system_sgpr_workgroup_id_x 1
		.amdhsa_system_sgpr_workgroup_id_y 0
		.amdhsa_system_sgpr_workgroup_id_z 0
		.amdhsa_system_sgpr_workgroup_info 0
		.amdhsa_system_vgpr_workitem_id 2
		.amdhsa_next_free_vgpr 31
		.amdhsa_next_free_sgpr 18
		.amdhsa_reserve_vcc 1
		.amdhsa_float_round_mode_32 0
		.amdhsa_float_round_mode_16_64 0
		.amdhsa_float_denorm_mode_32 3
		.amdhsa_float_denorm_mode_16_64 3
		.amdhsa_dx10_clamp 1
		.amdhsa_ieee_mode 1
		.amdhsa_fp16_overflow 0
		.amdhsa_workgroup_processor_mode 1
		.amdhsa_memory_ordered 1
		.amdhsa_forward_progress 0
		.amdhsa_shared_vgpr_count 0
		.amdhsa_exception_fp_ieee_invalid_op 0
		.amdhsa_exception_fp_denorm_src 0
		.amdhsa_exception_fp_ieee_div_zero 0
		.amdhsa_exception_fp_ieee_overflow 0
		.amdhsa_exception_fp_ieee_underflow 0
		.amdhsa_exception_fp_ieee_inexact 0
		.amdhsa_exception_int_div_zero 0
	.end_amdhsa_kernel
	.section	.text._ZN9rocsparseL16sddmm_ell_kernelILi512ELi8E21rocsparse_complex_numIdEiiS2_S2_S2_EEv20rocsparse_operation_S3_16rocsparse_order_S4_T3_S5_S5_T2_NS_24const_host_device_scalarIT1_EEPKT4_lPKT5_lS9_PT6_PKS5_21rocsparse_index_base_b,"axG",@progbits,_ZN9rocsparseL16sddmm_ell_kernelILi512ELi8E21rocsparse_complex_numIdEiiS2_S2_S2_EEv20rocsparse_operation_S3_16rocsparse_order_S4_T3_S5_S5_T2_NS_24const_host_device_scalarIT1_EEPKT4_lPKT5_lS9_PT6_PKS5_21rocsparse_index_base_b,comdat
.Lfunc_end26:
	.size	_ZN9rocsparseL16sddmm_ell_kernelILi512ELi8E21rocsparse_complex_numIdEiiS2_S2_S2_EEv20rocsparse_operation_S3_16rocsparse_order_S4_T3_S5_S5_T2_NS_24const_host_device_scalarIT1_EEPKT4_lPKT5_lS9_PT6_PKS5_21rocsparse_index_base_b, .Lfunc_end26-_ZN9rocsparseL16sddmm_ell_kernelILi512ELi8E21rocsparse_complex_numIdEiiS2_S2_S2_EEv20rocsparse_operation_S3_16rocsparse_order_S4_T3_S5_S5_T2_NS_24const_host_device_scalarIT1_EEPKT4_lPKT5_lS9_PT6_PKS5_21rocsparse_index_base_b
                                        ; -- End function
	.section	.AMDGPU.csdata,"",@progbits
; Kernel info:
; codeLenInByte = 1896
; NumSgprs: 20
; NumVgprs: 31
; ScratchSize: 0
; MemoryBound: 0
; FloatMode: 240
; IeeeMode: 1
; LDSByteSize: 16384 bytes/workgroup (compile time only)
; SGPRBlocks: 2
; VGPRBlocks: 3
; NumSGPRsForWavesPerEU: 20
; NumVGPRsForWavesPerEU: 31
; Occupancy: 16
; WaveLimiterHint : 0
; COMPUTE_PGM_RSRC2:SCRATCH_EN: 0
; COMPUTE_PGM_RSRC2:USER_SGPR: 15
; COMPUTE_PGM_RSRC2:TRAP_HANDLER: 0
; COMPUTE_PGM_RSRC2:TGID_X_EN: 1
; COMPUTE_PGM_RSRC2:TGID_Y_EN: 0
; COMPUTE_PGM_RSRC2:TGID_Z_EN: 0
; COMPUTE_PGM_RSRC2:TIDIG_COMP_CNT: 2
	.section	.text._ZN9rocsparseL16sddmm_ell_kernelILi512ELi4E21rocsparse_complex_numIdEiiS2_S2_S2_EEv20rocsparse_operation_S3_16rocsparse_order_S4_T3_S5_S5_T2_NS_24const_host_device_scalarIT1_EEPKT4_lPKT5_lS9_PT6_PKS5_21rocsparse_index_base_b,"axG",@progbits,_ZN9rocsparseL16sddmm_ell_kernelILi512ELi4E21rocsparse_complex_numIdEiiS2_S2_S2_EEv20rocsparse_operation_S3_16rocsparse_order_S4_T3_S5_S5_T2_NS_24const_host_device_scalarIT1_EEPKT4_lPKT5_lS9_PT6_PKS5_21rocsparse_index_base_b,comdat
	.globl	_ZN9rocsparseL16sddmm_ell_kernelILi512ELi4E21rocsparse_complex_numIdEiiS2_S2_S2_EEv20rocsparse_operation_S3_16rocsparse_order_S4_T3_S5_S5_T2_NS_24const_host_device_scalarIT1_EEPKT4_lPKT5_lS9_PT6_PKS5_21rocsparse_index_base_b ; -- Begin function _ZN9rocsparseL16sddmm_ell_kernelILi512ELi4E21rocsparse_complex_numIdEiiS2_S2_S2_EEv20rocsparse_operation_S3_16rocsparse_order_S4_T3_S5_S5_T2_NS_24const_host_device_scalarIT1_EEPKT4_lPKT5_lS9_PT6_PKS5_21rocsparse_index_base_b
	.p2align	8
	.type	_ZN9rocsparseL16sddmm_ell_kernelILi512ELi4E21rocsparse_complex_numIdEiiS2_S2_S2_EEv20rocsparse_operation_S3_16rocsparse_order_S4_T3_S5_S5_T2_NS_24const_host_device_scalarIT1_EEPKT4_lPKT5_lS9_PT6_PKS5_21rocsparse_index_base_b,@function
_ZN9rocsparseL16sddmm_ell_kernelILi512ELi4E21rocsparse_complex_numIdEiiS2_S2_S2_EEv20rocsparse_operation_S3_16rocsparse_order_S4_T3_S5_S5_T2_NS_24const_host_device_scalarIT1_EEPKT4_lPKT5_lS9_PT6_PKS5_21rocsparse_index_base_b: ; @_ZN9rocsparseL16sddmm_ell_kernelILi512ELi4E21rocsparse_complex_numIdEiiS2_S2_S2_EEv20rocsparse_operation_S3_16rocsparse_order_S4_T3_S5_S5_T2_NS_24const_host_device_scalarIT1_EEPKT4_lPKT5_lS9_PT6_PKS5_21rocsparse_index_base_b
; %bb.0:
	s_clause 0x1
	s_load_b64 s[12:13], s[2:3], 0x70
	s_load_b128 s[8:11], s[2:3], 0x20
	s_load_b64 s[16:17], s[0:1], 0x4
	s_mov_b64 s[0:1], src_shared_base
	v_and_b32_e32 v19, 0x3ff, v0
	s_load_b128 s[4:7], s[2:3], 0x48
	v_bfe_u32 v2, v0, 10, 10
	v_bfe_u32 v0, v0, 20, 10
	s_waitcnt lgkmcnt(0)
	s_bitcmp1_b32 s13, 0
	s_cselect_b32 s0, -1, 0
	s_delay_alu instid0(SALU_CYCLE_1) | instskip(SKIP_2) | instid1(SALU_CYCLE_1)
	s_and_b32 vcc_lo, s0, exec_lo
	s_cselect_b32 s13, s1, s9
	s_lshr_b32 s14, s16, 16
	s_mul_i32 s14, s14, s17
	s_delay_alu instid0(SALU_CYCLE_1) | instskip(NEXT) | instid1(VALU_DEP_1)
	v_mul_lo_u32 v1, s14, v19
	v_mad_u32_u24 v1, v2, s17, v1
	s_load_b64 s[16:17], s[2:3], 0x58
	v_dual_mov_b32 v2, s6 :: v_dual_mov_b32 v3, s7
	s_delay_alu instid0(VALU_DEP_2) | instskip(SKIP_1) | instid1(VALU_DEP_2)
	v_add_lshl_u32 v6, v1, v0, 3
	v_dual_mov_b32 v0, s8 :: v_dual_mov_b32 v5, s13
	v_dual_mov_b32 v1, s9 :: v_dual_add_nc_u32 v4, 0x3000, v6
	ds_store_2addr_stride64_b64 v6, v[2:3], v[0:1] offset0:16 offset1:24
	v_add_nc_u32_e32 v0, 0x2000, v6
	v_cndmask_b32_e64 v4, s8, v4, s0
	v_dual_mov_b32 v6, s10 :: v_dual_mov_b32 v7, s11
	s_xor_b32 s10, s0, -1
	flat_load_b64 v[4:5], v[4:5]
	s_cbranch_vccnz .LBB27_2
; %bb.1:
	v_dual_mov_b32 v1, s8 :: v_dual_mov_b32 v2, s9
	flat_load_b64 v[6:7], v[1:2] offset:8
.LBB27_2:
	s_and_b32 s8, s0, exec_lo
	s_cselect_b32 s1, s1, s7
	v_cndmask_b32_e64 v0, s6, v0, s0
	s_waitcnt lgkmcnt(0)
	v_dual_mov_b32 v1, s1 :: v_dual_mov_b32 v10, s16
	v_mov_b32_e32 v11, s17
	s_and_not1_b32 vcc_lo, exec_lo, s10
	flat_load_b64 v[8:9], v[0:1]
	s_cbranch_vccnz .LBB27_4
; %bb.3:
	v_dual_mov_b32 v0, s6 :: v_dual_mov_b32 v1, s7
	flat_load_b64 v[10:11], v[0:1] offset:8
.LBB27_4:
	s_waitcnt vmcnt(1)
	v_cmp_eq_f64_e32 vcc_lo, 0, v[4:5]
	v_cmp_eq_f64_e64 s0, 0, v[6:7]
	s_delay_alu instid0(VALU_DEP_1)
	s_and_b32 s6, vcc_lo, s0
	s_mov_b32 s0, -1
	s_and_saveexec_b32 s1, s6
	s_cbranch_execz .LBB27_6
; %bb.5:
	s_waitcnt vmcnt(0) lgkmcnt(0)
	v_cmp_neq_f64_e32 vcc_lo, 1.0, v[8:9]
	v_cmp_neq_f64_e64 s0, 0, v[10:11]
	s_delay_alu instid0(VALU_DEP_1) | instskip(NEXT) | instid1(SALU_CYCLE_1)
	s_or_b32 s0, vcc_lo, s0
	s_or_not1_b32 s0, s0, exec_lo
.LBB27_6:
	s_or_b32 exec_lo, exec_lo, s1
	s_and_saveexec_b32 s1, s0
	s_cbranch_execz .LBB27_35
; %bb.7:
	s_load_b64 s[6:7], s[2:3], 0x18
	v_lshrrev_b32_e32 v18, 2, v19
	s_delay_alu instid0(VALU_DEP_1) | instskip(SKIP_1) | instid1(VALU_DEP_1)
	v_lshl_or_b32 v12, s15, 7, v18
	s_waitcnt lgkmcnt(0)
	v_cmp_gt_i32_e32 vcc_lo, s7, v12
	s_and_b32 exec_lo, exec_lo, vcc_lo
	s_cbranch_execz .LBB27_35
; %bb.8:
	s_load_b64 s[0:1], s[2:3], 0x68
	v_ashrrev_i32_e32 v13, 31, v12
	s_mov_b32 s13, -1
	s_delay_alu instid0(VALU_DEP_1) | instskip(SKIP_1) | instid1(VALU_DEP_1)
	v_lshlrev_b64 v[0:1], 2, v[12:13]
	s_waitcnt lgkmcnt(0)
	v_add_co_u32 v0, vcc_lo, s0, v0
	s_delay_alu instid0(VALU_DEP_2) | instskip(SKIP_3) | instid1(VALU_DEP_1)
	v_add_co_ci_u32_e32 v1, vcc_lo, s1, v1, vcc_lo
	global_load_b32 v0, v[0:1], off
	s_waitcnt vmcnt(0)
	v_subrev_nc_u32_e32 v0, s12, v0
	v_cmp_lt_i32_e32 vcc_lo, -1, v0
	s_and_b32 exec_lo, exec_lo, vcc_lo
	s_cbranch_execz .LBB27_35
; %bb.9:
	s_clause 0x1
	s_load_b128 s[8:11], s[2:3], 0x0
	s_load_b32 s0, s[2:3], 0x10
	v_sub_nc_u32_e32 v3, 0, v12
	s_waitcnt lgkmcnt(0)
	s_cmp_eq_u32 s10, 1
	s_cselect_b32 s7, -1, 0
	s_cmpk_eq_i32 s8, 0x6f
	s_cselect_b32 s12, -1, 0
	s_cmpk_lg_i32 s8, 0x6f
	s_cselect_b32 s8, -1, 0
	s_abs_i32 s14, s0
	s_delay_alu instid0(SALU_CYCLE_1) | instskip(SKIP_2) | instid1(VALU_DEP_1)
	v_cvt_f32_u32_e32 v1, s14
	s_sub_i32 s0, 0, s14
	s_cmp_lg_u32 s10, 1
	v_rcp_iflag_f32_e32 v1, v1
	s_waitcnt_depctr 0xfff
	v_mul_f32_e32 v1, 0x4f7ffffe, v1
	s_delay_alu instid0(VALU_DEP_1) | instskip(NEXT) | instid1(VALU_DEP_1)
	v_cvt_u32_f32_e32 v1, v1
	v_mul_lo_u32 v2, s0, v1
	s_load_b64 s[0:1], s[2:3], 0x38
	s_delay_alu instid0(VALU_DEP_1) | instskip(NEXT) | instid1(VALU_DEP_1)
	v_mul_hi_u32 v2, v1, v2
	v_add_nc_u32_e32 v1, v1, v2
	v_max_i32_e32 v2, v12, v3
	s_delay_alu instid0(VALU_DEP_1) | instskip(NEXT) | instid1(VALU_DEP_1)
	v_mul_hi_u32 v1, v2, v1
	v_mul_lo_u32 v1, v1, s14
	s_delay_alu instid0(VALU_DEP_1) | instskip(NEXT) | instid1(VALU_DEP_1)
	v_sub_nc_u32_e32 v1, v2, v1
	v_subrev_nc_u32_e32 v2, s14, v1
	v_cmp_le_u32_e32 vcc_lo, s14, v1
	s_delay_alu instid0(VALU_DEP_2) | instskip(NEXT) | instid1(VALU_DEP_1)
	v_cndmask_b32_e32 v1, v1, v2, vcc_lo
	v_subrev_nc_u32_e32 v2, s14, v1
	v_cmp_le_u32_e32 vcc_lo, s14, v1
	s_delay_alu instid0(VALU_DEP_2) | instskip(NEXT) | instid1(VALU_DEP_1)
	v_cndmask_b32_e32 v1, v1, v2, vcc_lo
	v_xor_b32_e32 v1, v1, v13
	s_delay_alu instid0(VALU_DEP_1) | instskip(NEXT) | instid1(VALU_DEP_1)
	v_sub_nc_u32_e32 v1, v1, v13
	v_ashrrev_i32_e32 v2, 31, v1
	s_cbranch_scc0 .LBB27_13
; %bb.10:
	s_delay_alu instid0(VALU_DEP_1)
	v_dual_mov_b32 v15, v2 :: v_dual_mov_b32 v14, v1
	s_and_not1_b32 vcc_lo, exec_lo, s12
	s_cbranch_vccnz .LBB27_12
; %bb.11:
	s_waitcnt lgkmcnt(0)
	v_mul_lo_u32 v3, v2, s0
	v_mul_lo_u32 v16, v1, s1
	v_mad_u64_u32 v[14:15], null, v1, s0, 0
	s_delay_alu instid0(VALU_DEP_1)
	v_add3_u32 v15, v15, v16, v3
.LBB27_12:
	s_cbranch_execz .LBB27_14
	s_branch .LBB27_17
.LBB27_13:
                                        ; implicit-def: $vgpr14_vgpr15
	s_and_not1_b32 vcc_lo, exec_lo, s13
	s_cbranch_vccnz .LBB27_17
.LBB27_14:
	s_and_not1_b32 vcc_lo, exec_lo, s8
	s_cbranch_vccnz .LBB27_16
; %bb.15:
	s_waitcnt lgkmcnt(0)
	v_mul_lo_u32 v14, v2, s0
	v_mul_lo_u32 v15, v1, s1
	v_mad_u64_u32 v[2:3], null, v1, s0, 0
	s_delay_alu instid0(VALU_DEP_1) | instskip(NEXT) | instid1(VALU_DEP_2)
	v_add3_u32 v3, v3, v15, v14
	v_mov_b32_e32 v1, v2
	s_delay_alu instid0(VALU_DEP_2)
	v_mov_b32_e32 v2, v3
.LBB27_16:
	s_delay_alu instid0(VALU_DEP_1)
	v_dual_mov_b32 v15, v2 :: v_dual_mov_b32 v14, v1
.LBB27_17:
	s_cmp_eq_u32 s11, 1
	v_mov_b32_e32 v1, 0
	s_cselect_b32 s13, -1, 0
	s_cmpk_eq_i32 s9, 0x6f
	s_cselect_b32 s14, -1, 0
	s_cmpk_lg_i32 s9, 0x6f
	s_cselect_b32 s8, -1, 0
	s_cmp_lg_u32 s11, 1
	s_cbranch_scc0 .LBB27_21
; %bb.18:
	v_dual_mov_b32 v17, v1 :: v_dual_mov_b32 v16, v0
	s_and_not1_b32 vcc_lo, exec_lo, s8
	s_cbranch_vccnz .LBB27_20
; %bb.19:
	v_mad_u64_u32 v[16:17], null, v0, s4, 0
	s_delay_alu instid0(VALU_DEP_1) | instskip(NEXT) | instid1(VALU_DEP_1)
	v_mov_b32_e32 v2, v17
	v_mad_u64_u32 v[20:21], null, v0, s5, v[2:3]
	s_delay_alu instid0(VALU_DEP_1)
	v_mov_b32_e32 v17, v20
.LBB27_20:
	s_cbranch_execz .LBB27_22
	s_branch .LBB27_25
.LBB27_21:
                                        ; implicit-def: $vgpr16_vgpr17
.LBB27_22:
	s_and_not1_b32 vcc_lo, exec_lo, s14
	s_cbranch_vccnz .LBB27_24
; %bb.23:
	v_mad_u64_u32 v[1:2], null, v0, s4, 0
	s_delay_alu instid0(VALU_DEP_1) | instskip(NEXT) | instid1(VALU_DEP_1)
	v_mad_u64_u32 v[16:17], null, v0, s5, v[2:3]
	v_mov_b32_e32 v2, v16
	s_delay_alu instid0(VALU_DEP_3) | instskip(NEXT) | instid1(VALU_DEP_2)
	v_mov_b32_e32 v0, v1
	v_mov_b32_e32 v1, v2
.LBB27_24:
	s_delay_alu instid0(VALU_DEP_1)
	v_dual_mov_b32 v17, v1 :: v_dual_mov_b32 v16, v0
.LBB27_25:
	s_load_b64 s[8:9], s[2:3], 0x60
	v_mov_b32_e32 v2, 0
	v_dual_mov_b32 v3, 0 :: v_dual_and_b32 v20, 3, v19
	s_delay_alu instid0(VALU_DEP_2) | instskip(SKIP_1) | instid1(VALU_DEP_2)
	v_mov_b32_e32 v0, v2
	s_mov_b32 s10, exec_lo
	v_mov_b32_e32 v1, v3
	s_delay_alu instid0(VALU_DEP_3)
	v_cmpx_gt_i32_e64 s6, v20
	s_cbranch_execz .LBB27_29
; %bb.26:
	s_xor_b32 s7, s12, s7
	v_and_b32_e32 v3, 3, v19
	s_and_b32 s7, s7, exec_lo
	s_waitcnt lgkmcnt(0)
	s_cselect_b32 s16, 1, s0
	s_cselect_b32 s17, 0, s1
	s_xor_b32 s0, s14, s13
	v_mad_u64_u32 v[21:22], null, s16, v3, 0
	s_and_b32 s0, s0, exec_lo
	s_cselect_b32 s4, s4, 1
	s_cselect_b32 s5, s5, 0
	s_clause 0x1
	s_load_b64 s[0:1], s[2:3], 0x40
	s_load_b64 s[2:3], s[2:3], 0x30
	v_lshlrev_b64 v[16:17], 4, v[16:17]
	v_mov_b32_e32 v2, v22
	v_mad_u64_u32 v[0:1], null, s4, v3, 0
	v_lshlrev_b64 v[14:15], 4, v[14:15]
	v_mov_b32_e32 v19, v20
	s_delay_alu instid0(VALU_DEP_3) | instskip(SKIP_3) | instid1(VALU_DEP_3)
	v_mad_u64_u32 v[22:23], null, s5, v3, v[1:2]
	v_mad_u64_u32 v[23:24], null, s17, v3, v[2:3]
	v_mov_b32_e32 v2, 0
	v_mov_b32_e32 v3, 0
	v_dual_mov_b32 v1, v22 :: v_dual_mov_b32 v22, v23
	s_delay_alu instid0(VALU_DEP_1) | instskip(NEXT) | instid1(VALU_DEP_2)
	v_lshlrev_b64 v[0:1], 4, v[0:1]
	v_lshlrev_b64 v[21:22], 4, v[21:22]
	s_delay_alu instid0(VALU_DEP_2) | instskip(NEXT) | instid1(VALU_DEP_3)
	v_add_co_u32 v0, vcc_lo, v0, v16
	v_add_co_ci_u32_e32 v1, vcc_lo, v1, v17, vcc_lo
	s_delay_alu instid0(VALU_DEP_3) | instskip(NEXT) | instid1(VALU_DEP_4)
	v_add_co_u32 v14, vcc_lo, v21, v14
	v_add_co_ci_u32_e32 v15, vcc_lo, v22, v15, vcc_lo
	s_waitcnt lgkmcnt(0)
	v_add_co_u32 v0, vcc_lo, v0, s0
	v_add_co_ci_u32_e32 v1, vcc_lo, s1, v1, vcc_lo
	v_add_co_u32 v16, vcc_lo, v14, s2
	v_add_co_ci_u32_e32 v17, vcc_lo, s3, v15, vcc_lo
	s_delay_alu instid0(VALU_DEP_4) | instskip(NEXT) | instid1(VALU_DEP_4)
	v_add_co_u32 v14, vcc_lo, v0, 8
	v_add_co_ci_u32_e32 v15, vcc_lo, 0, v1, vcc_lo
	s_delay_alu instid0(VALU_DEP_4) | instskip(NEXT) | instid1(VALU_DEP_4)
	v_add_co_u32 v16, vcc_lo, v16, 8
	v_add_co_ci_u32_e32 v17, vcc_lo, 0, v17, vcc_lo
	v_dual_mov_b32 v0, v2 :: v_dual_mov_b32 v1, v3
	s_mov_b32 s1, 0
	s_lshl_b64 s[2:3], s[4:5], 6
	s_lshl_b64 s[4:5], s[16:17], 6
	.p2align	6
.LBB27_27:                              ; =>This Inner Loop Header: Depth=1
	global_load_b128 v[21:24], v[14:15], off offset:-8
	global_load_b128 v[25:28], v[16:17], off offset:-8
	v_add_nc_u32_e32 v19, 4, v19
	v_add_co_u32 v14, vcc_lo, v14, s2
	v_add_co_ci_u32_e32 v15, vcc_lo, s3, v15, vcc_lo
	s_delay_alu instid0(VALU_DEP_3) | instskip(SKIP_1) | instid1(VALU_DEP_1)
	v_cmp_le_i32_e32 vcc_lo, s6, v19
	v_add_co_u32 v16, s0, v16, s4
	v_add_co_ci_u32_e64 v17, s0, s5, v17, s0
	s_or_b32 s1, vcc_lo, s1
	s_waitcnt vmcnt(0)
	v_mul_f64 v[29:30], v[23:24], -v[27:28]
	v_mul_f64 v[23:24], v[23:24], v[25:26]
	s_delay_alu instid0(VALU_DEP_2) | instskip(NEXT) | instid1(VALU_DEP_2)
	v_fma_f64 v[25:26], v[25:26], v[21:22], v[29:30]
	v_fma_f64 v[21:22], v[27:28], v[21:22], v[23:24]
	s_delay_alu instid0(VALU_DEP_2) | instskip(NEXT) | instid1(VALU_DEP_2)
	v_add_f64 v[0:1], v[0:1], v[25:26]
	v_add_f64 v[2:3], v[2:3], v[21:22]
	s_and_not1_b32 exec_lo, exec_lo, s1
	s_cbranch_execnz .LBB27_27
; %bb.28:
	s_or_b32 exec_lo, exec_lo, s1
.LBB27_29:
	s_delay_alu instid0(SALU_CYCLE_1) | instskip(SKIP_3) | instid1(VALU_DEP_1)
	s_or_b32 exec_lo, exec_lo, s10
	v_lshlrev_b32_e32 v14, 4, v20
	s_waitcnt lgkmcnt(0)
	s_mov_b32 s0, exec_lo
	v_lshl_or_b32 v14, v18, 6, v14
	ds_store_b128 v14, v[0:3]
	s_waitcnt lgkmcnt(0)
	s_barrier
	buffer_gl0_inv
	v_cmpx_gt_u32_e32 2, v20
	s_cbranch_execz .LBB27_31
; %bb.30:
	ds_load_b128 v[0:3], v14
	ds_load_b128 v[21:24], v14 offset:32
	s_waitcnt lgkmcnt(0)
	v_add_f64 v[0:1], v[21:22], v[0:1]
	v_add_f64 v[2:3], v[23:24], v[2:3]
	ds_store_b128 v14, v[0:3]
.LBB27_31:
	s_or_b32 exec_lo, exec_lo, s0
	v_cmp_eq_u32_e32 vcc_lo, 0, v20
	v_lshlrev_b32_e32 v0, 6, v18
	s_waitcnt lgkmcnt(0)
	s_barrier
	buffer_gl0_inv
	s_and_saveexec_b32 s0, vcc_lo
	s_cbranch_execz .LBB27_33
; %bb.32:
	ds_load_b128 v[15:18], v0 offset:16
	ds_load_b128 v[19:22], v14
	s_waitcnt lgkmcnt(0)
	v_add_f64 v[15:16], v[15:16], v[19:20]
	v_add_f64 v[17:18], v[17:18], v[21:22]
	ds_store_b128 v14, v[15:18]
.LBB27_33:
	s_or_b32 exec_lo, exec_lo, s0
	s_waitcnt lgkmcnt(0)
	s_barrier
	buffer_gl0_inv
	s_and_b32 exec_lo, exec_lo, vcc_lo
	s_cbranch_execz .LBB27_35
; %bb.34:
	v_lshlrev_b64 v[1:2], 4, v[12:13]
	s_delay_alu instid0(VALU_DEP_1) | instskip(NEXT) | instid1(VALU_DEP_2)
	v_add_co_u32 v16, vcc_lo, s8, v1
	v_add_co_ci_u32_e32 v17, vcc_lo, s9, v2, vcc_lo
	ds_load_b128 v[0:3], v0
	global_load_b128 v[12:15], v[16:17], off
	s_waitcnt lgkmcnt(0)
	v_mul_f64 v[18:19], v[2:3], -v[6:7]
	v_mul_f64 v[2:3], v[4:5], v[2:3]
	s_delay_alu instid0(VALU_DEP_2) | instskip(NEXT) | instid1(VALU_DEP_2)
	v_fma_f64 v[4:5], v[4:5], v[0:1], v[18:19]
	v_fma_f64 v[2:3], v[6:7], v[0:1], v[2:3]
	s_waitcnt vmcnt(0)
	v_mul_f64 v[20:21], v[10:11], -v[14:15]
	v_mul_f64 v[10:11], v[10:11], v[12:13]
	s_delay_alu instid0(VALU_DEP_2) | instskip(NEXT) | instid1(VALU_DEP_2)
	v_fma_f64 v[0:1], v[12:13], v[8:9], v[20:21]
	v_fma_f64 v[6:7], v[14:15], v[8:9], v[10:11]
	s_delay_alu instid0(VALU_DEP_2) | instskip(NEXT) | instid1(VALU_DEP_2)
	v_add_f64 v[0:1], v[0:1], v[4:5]
	v_add_f64 v[2:3], v[6:7], v[2:3]
	global_store_b128 v[16:17], v[0:3], off
.LBB27_35:
	s_nop 0
	s_sendmsg sendmsg(MSG_DEALLOC_VGPRS)
	s_endpgm
	.section	.rodata,"a",@progbits
	.p2align	6, 0x0
	.amdhsa_kernel _ZN9rocsparseL16sddmm_ell_kernelILi512ELi4E21rocsparse_complex_numIdEiiS2_S2_S2_EEv20rocsparse_operation_S3_16rocsparse_order_S4_T3_S5_S5_T2_NS_24const_host_device_scalarIT1_EEPKT4_lPKT5_lS9_PT6_PKS5_21rocsparse_index_base_b
		.amdhsa_group_segment_fixed_size 16384
		.amdhsa_private_segment_fixed_size 0
		.amdhsa_kernarg_size 120
		.amdhsa_user_sgpr_count 15
		.amdhsa_user_sgpr_dispatch_ptr 1
		.amdhsa_user_sgpr_queue_ptr 0
		.amdhsa_user_sgpr_kernarg_segment_ptr 1
		.amdhsa_user_sgpr_dispatch_id 0
		.amdhsa_user_sgpr_private_segment_size 0
		.amdhsa_wavefront_size32 1
		.amdhsa_uses_dynamic_stack 0
		.amdhsa_enable_private_segment 0
		.amdhsa_system_sgpr_workgroup_id_x 1
		.amdhsa_system_sgpr_workgroup_id_y 0
		.amdhsa_system_sgpr_workgroup_id_z 0
		.amdhsa_system_sgpr_workgroup_info 0
		.amdhsa_system_vgpr_workitem_id 2
		.amdhsa_next_free_vgpr 31
		.amdhsa_next_free_sgpr 18
		.amdhsa_reserve_vcc 1
		.amdhsa_float_round_mode_32 0
		.amdhsa_float_round_mode_16_64 0
		.amdhsa_float_denorm_mode_32 3
		.amdhsa_float_denorm_mode_16_64 3
		.amdhsa_dx10_clamp 1
		.amdhsa_ieee_mode 1
		.amdhsa_fp16_overflow 0
		.amdhsa_workgroup_processor_mode 1
		.amdhsa_memory_ordered 1
		.amdhsa_forward_progress 0
		.amdhsa_shared_vgpr_count 0
		.amdhsa_exception_fp_ieee_invalid_op 0
		.amdhsa_exception_fp_denorm_src 0
		.amdhsa_exception_fp_ieee_div_zero 0
		.amdhsa_exception_fp_ieee_overflow 0
		.amdhsa_exception_fp_ieee_underflow 0
		.amdhsa_exception_fp_ieee_inexact 0
		.amdhsa_exception_int_div_zero 0
	.end_amdhsa_kernel
	.section	.text._ZN9rocsparseL16sddmm_ell_kernelILi512ELi4E21rocsparse_complex_numIdEiiS2_S2_S2_EEv20rocsparse_operation_S3_16rocsparse_order_S4_T3_S5_S5_T2_NS_24const_host_device_scalarIT1_EEPKT4_lPKT5_lS9_PT6_PKS5_21rocsparse_index_base_b,"axG",@progbits,_ZN9rocsparseL16sddmm_ell_kernelILi512ELi4E21rocsparse_complex_numIdEiiS2_S2_S2_EEv20rocsparse_operation_S3_16rocsparse_order_S4_T3_S5_S5_T2_NS_24const_host_device_scalarIT1_EEPKT4_lPKT5_lS9_PT6_PKS5_21rocsparse_index_base_b,comdat
.Lfunc_end27:
	.size	_ZN9rocsparseL16sddmm_ell_kernelILi512ELi4E21rocsparse_complex_numIdEiiS2_S2_S2_EEv20rocsparse_operation_S3_16rocsparse_order_S4_T3_S5_S5_T2_NS_24const_host_device_scalarIT1_EEPKT4_lPKT5_lS9_PT6_PKS5_21rocsparse_index_base_b, .Lfunc_end27-_ZN9rocsparseL16sddmm_ell_kernelILi512ELi4E21rocsparse_complex_numIdEiiS2_S2_S2_EEv20rocsparse_operation_S3_16rocsparse_order_S4_T3_S5_S5_T2_NS_24const_host_device_scalarIT1_EEPKT4_lPKT5_lS9_PT6_PKS5_21rocsparse_index_base_b
                                        ; -- End function
	.section	.AMDGPU.csdata,"",@progbits
; Kernel info:
; codeLenInByte = 1816
; NumSgprs: 20
; NumVgprs: 31
; ScratchSize: 0
; MemoryBound: 0
; FloatMode: 240
; IeeeMode: 1
; LDSByteSize: 16384 bytes/workgroup (compile time only)
; SGPRBlocks: 2
; VGPRBlocks: 3
; NumSGPRsForWavesPerEU: 20
; NumVGPRsForWavesPerEU: 31
; Occupancy: 16
; WaveLimiterHint : 0
; COMPUTE_PGM_RSRC2:SCRATCH_EN: 0
; COMPUTE_PGM_RSRC2:USER_SGPR: 15
; COMPUTE_PGM_RSRC2:TRAP_HANDLER: 0
; COMPUTE_PGM_RSRC2:TGID_X_EN: 1
; COMPUTE_PGM_RSRC2:TGID_Y_EN: 0
; COMPUTE_PGM_RSRC2:TGID_Z_EN: 0
; COMPUTE_PGM_RSRC2:TIDIG_COMP_CNT: 2
	.section	.text._ZN9rocsparseL16sddmm_ell_kernelILi512ELi2E21rocsparse_complex_numIdEiiS2_S2_S2_EEv20rocsparse_operation_S3_16rocsparse_order_S4_T3_S5_S5_T2_NS_24const_host_device_scalarIT1_EEPKT4_lPKT5_lS9_PT6_PKS5_21rocsparse_index_base_b,"axG",@progbits,_ZN9rocsparseL16sddmm_ell_kernelILi512ELi2E21rocsparse_complex_numIdEiiS2_S2_S2_EEv20rocsparse_operation_S3_16rocsparse_order_S4_T3_S5_S5_T2_NS_24const_host_device_scalarIT1_EEPKT4_lPKT5_lS9_PT6_PKS5_21rocsparse_index_base_b,comdat
	.globl	_ZN9rocsparseL16sddmm_ell_kernelILi512ELi2E21rocsparse_complex_numIdEiiS2_S2_S2_EEv20rocsparse_operation_S3_16rocsparse_order_S4_T3_S5_S5_T2_NS_24const_host_device_scalarIT1_EEPKT4_lPKT5_lS9_PT6_PKS5_21rocsparse_index_base_b ; -- Begin function _ZN9rocsparseL16sddmm_ell_kernelILi512ELi2E21rocsparse_complex_numIdEiiS2_S2_S2_EEv20rocsparse_operation_S3_16rocsparse_order_S4_T3_S5_S5_T2_NS_24const_host_device_scalarIT1_EEPKT4_lPKT5_lS9_PT6_PKS5_21rocsparse_index_base_b
	.p2align	8
	.type	_ZN9rocsparseL16sddmm_ell_kernelILi512ELi2E21rocsparse_complex_numIdEiiS2_S2_S2_EEv20rocsparse_operation_S3_16rocsparse_order_S4_T3_S5_S5_T2_NS_24const_host_device_scalarIT1_EEPKT4_lPKT5_lS9_PT6_PKS5_21rocsparse_index_base_b,@function
_ZN9rocsparseL16sddmm_ell_kernelILi512ELi2E21rocsparse_complex_numIdEiiS2_S2_S2_EEv20rocsparse_operation_S3_16rocsparse_order_S4_T3_S5_S5_T2_NS_24const_host_device_scalarIT1_EEPKT4_lPKT5_lS9_PT6_PKS5_21rocsparse_index_base_b: ; @_ZN9rocsparseL16sddmm_ell_kernelILi512ELi2E21rocsparse_complex_numIdEiiS2_S2_S2_EEv20rocsparse_operation_S3_16rocsparse_order_S4_T3_S5_S5_T2_NS_24const_host_device_scalarIT1_EEPKT4_lPKT5_lS9_PT6_PKS5_21rocsparse_index_base_b
; %bb.0:
	s_clause 0x1
	s_load_b64 s[12:13], s[2:3], 0x70
	s_load_b128 s[8:11], s[2:3], 0x20
	s_load_b64 s[16:17], s[0:1], 0x4
	s_mov_b64 s[0:1], src_shared_base
	v_and_b32_e32 v19, 0x3ff, v0
	s_load_b128 s[4:7], s[2:3], 0x48
	v_bfe_u32 v2, v0, 10, 10
	v_bfe_u32 v0, v0, 20, 10
	s_waitcnt lgkmcnt(0)
	s_bitcmp1_b32 s13, 0
	s_cselect_b32 s0, -1, 0
	s_delay_alu instid0(SALU_CYCLE_1) | instskip(SKIP_2) | instid1(SALU_CYCLE_1)
	s_and_b32 vcc_lo, s0, exec_lo
	s_cselect_b32 s13, s1, s9
	s_lshr_b32 s14, s16, 16
	s_mul_i32 s14, s14, s17
	s_delay_alu instid0(SALU_CYCLE_1) | instskip(NEXT) | instid1(VALU_DEP_1)
	v_mul_lo_u32 v1, s14, v19
	v_mad_u32_u24 v1, v2, s17, v1
	s_load_b64 s[16:17], s[2:3], 0x58
	v_dual_mov_b32 v2, s6 :: v_dual_mov_b32 v3, s7
	s_delay_alu instid0(VALU_DEP_2) | instskip(SKIP_1) | instid1(VALU_DEP_2)
	v_add_lshl_u32 v6, v1, v0, 3
	v_dual_mov_b32 v0, s8 :: v_dual_mov_b32 v5, s13
	v_dual_mov_b32 v1, s9 :: v_dual_add_nc_u32 v4, 0x3000, v6
	ds_store_2addr_stride64_b64 v6, v[2:3], v[0:1] offset0:16 offset1:24
	v_add_nc_u32_e32 v0, 0x2000, v6
	v_cndmask_b32_e64 v4, s8, v4, s0
	v_dual_mov_b32 v6, s10 :: v_dual_mov_b32 v7, s11
	s_xor_b32 s10, s0, -1
	flat_load_b64 v[4:5], v[4:5]
	s_cbranch_vccnz .LBB28_2
; %bb.1:
	v_dual_mov_b32 v1, s8 :: v_dual_mov_b32 v2, s9
	flat_load_b64 v[6:7], v[1:2] offset:8
.LBB28_2:
	s_and_b32 s8, s0, exec_lo
	s_cselect_b32 s1, s1, s7
	v_cndmask_b32_e64 v0, s6, v0, s0
	s_waitcnt lgkmcnt(0)
	v_dual_mov_b32 v1, s1 :: v_dual_mov_b32 v10, s16
	v_mov_b32_e32 v11, s17
	s_and_not1_b32 vcc_lo, exec_lo, s10
	flat_load_b64 v[8:9], v[0:1]
	s_cbranch_vccnz .LBB28_4
; %bb.3:
	v_dual_mov_b32 v0, s6 :: v_dual_mov_b32 v1, s7
	flat_load_b64 v[10:11], v[0:1] offset:8
.LBB28_4:
	s_waitcnt vmcnt(1)
	v_cmp_eq_f64_e32 vcc_lo, 0, v[4:5]
	v_cmp_eq_f64_e64 s0, 0, v[6:7]
	s_delay_alu instid0(VALU_DEP_1)
	s_and_b32 s6, vcc_lo, s0
	s_mov_b32 s0, -1
	s_and_saveexec_b32 s1, s6
	s_cbranch_execz .LBB28_6
; %bb.5:
	s_waitcnt vmcnt(0) lgkmcnt(0)
	v_cmp_neq_f64_e32 vcc_lo, 1.0, v[8:9]
	v_cmp_neq_f64_e64 s0, 0, v[10:11]
	s_delay_alu instid0(VALU_DEP_1) | instskip(NEXT) | instid1(SALU_CYCLE_1)
	s_or_b32 s0, vcc_lo, s0
	s_or_not1_b32 s0, s0, exec_lo
.LBB28_6:
	s_or_b32 exec_lo, exec_lo, s1
	s_and_saveexec_b32 s1, s0
	s_cbranch_execz .LBB28_33
; %bb.7:
	s_load_b64 s[6:7], s[2:3], 0x18
	v_lshrrev_b32_e32 v18, 1, v19
	s_delay_alu instid0(VALU_DEP_1) | instskip(SKIP_1) | instid1(VALU_DEP_1)
	v_lshl_or_b32 v12, s15, 8, v18
	s_waitcnt lgkmcnt(0)
	v_cmp_gt_i32_e32 vcc_lo, s7, v12
	s_and_b32 exec_lo, exec_lo, vcc_lo
	s_cbranch_execz .LBB28_33
; %bb.8:
	s_load_b64 s[0:1], s[2:3], 0x68
	v_ashrrev_i32_e32 v13, 31, v12
	s_mov_b32 s13, -1
	s_delay_alu instid0(VALU_DEP_1) | instskip(SKIP_1) | instid1(VALU_DEP_1)
	v_lshlrev_b64 v[0:1], 2, v[12:13]
	s_waitcnt lgkmcnt(0)
	v_add_co_u32 v0, vcc_lo, s0, v0
	s_delay_alu instid0(VALU_DEP_2) | instskip(SKIP_3) | instid1(VALU_DEP_1)
	v_add_co_ci_u32_e32 v1, vcc_lo, s1, v1, vcc_lo
	global_load_b32 v0, v[0:1], off
	s_waitcnt vmcnt(0)
	v_subrev_nc_u32_e32 v0, s12, v0
	v_cmp_lt_i32_e32 vcc_lo, -1, v0
	s_and_b32 exec_lo, exec_lo, vcc_lo
	s_cbranch_execz .LBB28_33
; %bb.9:
	s_clause 0x1
	s_load_b128 s[8:11], s[2:3], 0x0
	s_load_b32 s0, s[2:3], 0x10
	v_sub_nc_u32_e32 v3, 0, v12
	s_waitcnt lgkmcnt(0)
	s_cmp_eq_u32 s10, 1
	s_cselect_b32 s7, -1, 0
	s_cmpk_eq_i32 s8, 0x6f
	s_cselect_b32 s12, -1, 0
	s_cmpk_lg_i32 s8, 0x6f
	s_cselect_b32 s8, -1, 0
	s_abs_i32 s14, s0
	s_delay_alu instid0(SALU_CYCLE_1) | instskip(SKIP_2) | instid1(VALU_DEP_1)
	v_cvt_f32_u32_e32 v1, s14
	s_sub_i32 s0, 0, s14
	s_cmp_lg_u32 s10, 1
	v_rcp_iflag_f32_e32 v1, v1
	s_waitcnt_depctr 0xfff
	v_mul_f32_e32 v1, 0x4f7ffffe, v1
	s_delay_alu instid0(VALU_DEP_1) | instskip(NEXT) | instid1(VALU_DEP_1)
	v_cvt_u32_f32_e32 v1, v1
	v_mul_lo_u32 v2, s0, v1
	s_load_b64 s[0:1], s[2:3], 0x38
	s_delay_alu instid0(VALU_DEP_1) | instskip(NEXT) | instid1(VALU_DEP_1)
	v_mul_hi_u32 v2, v1, v2
	v_add_nc_u32_e32 v1, v1, v2
	v_max_i32_e32 v2, v12, v3
	s_delay_alu instid0(VALU_DEP_1) | instskip(NEXT) | instid1(VALU_DEP_1)
	v_mul_hi_u32 v1, v2, v1
	v_mul_lo_u32 v1, v1, s14
	s_delay_alu instid0(VALU_DEP_1) | instskip(NEXT) | instid1(VALU_DEP_1)
	v_sub_nc_u32_e32 v1, v2, v1
	v_subrev_nc_u32_e32 v2, s14, v1
	v_cmp_le_u32_e32 vcc_lo, s14, v1
	s_delay_alu instid0(VALU_DEP_2) | instskip(NEXT) | instid1(VALU_DEP_1)
	v_cndmask_b32_e32 v1, v1, v2, vcc_lo
	v_subrev_nc_u32_e32 v2, s14, v1
	v_cmp_le_u32_e32 vcc_lo, s14, v1
	s_delay_alu instid0(VALU_DEP_2) | instskip(NEXT) | instid1(VALU_DEP_1)
	v_cndmask_b32_e32 v1, v1, v2, vcc_lo
	v_xor_b32_e32 v1, v1, v13
	s_delay_alu instid0(VALU_DEP_1) | instskip(NEXT) | instid1(VALU_DEP_1)
	v_sub_nc_u32_e32 v1, v1, v13
	v_ashrrev_i32_e32 v2, 31, v1
	s_cbranch_scc0 .LBB28_13
; %bb.10:
	s_delay_alu instid0(VALU_DEP_1)
	v_dual_mov_b32 v15, v2 :: v_dual_mov_b32 v14, v1
	s_and_not1_b32 vcc_lo, exec_lo, s12
	s_cbranch_vccnz .LBB28_12
; %bb.11:
	s_waitcnt lgkmcnt(0)
	v_mul_lo_u32 v3, v2, s0
	v_mul_lo_u32 v16, v1, s1
	v_mad_u64_u32 v[14:15], null, v1, s0, 0
	s_delay_alu instid0(VALU_DEP_1)
	v_add3_u32 v15, v15, v16, v3
.LBB28_12:
	s_cbranch_execz .LBB28_14
	s_branch .LBB28_17
.LBB28_13:
                                        ; implicit-def: $vgpr14_vgpr15
	s_and_not1_b32 vcc_lo, exec_lo, s13
	s_cbranch_vccnz .LBB28_17
.LBB28_14:
	s_and_not1_b32 vcc_lo, exec_lo, s8
	s_cbranch_vccnz .LBB28_16
; %bb.15:
	s_waitcnt lgkmcnt(0)
	v_mul_lo_u32 v14, v2, s0
	v_mul_lo_u32 v15, v1, s1
	v_mad_u64_u32 v[2:3], null, v1, s0, 0
	s_delay_alu instid0(VALU_DEP_1) | instskip(NEXT) | instid1(VALU_DEP_2)
	v_add3_u32 v3, v3, v15, v14
	v_mov_b32_e32 v1, v2
	s_delay_alu instid0(VALU_DEP_2)
	v_mov_b32_e32 v2, v3
.LBB28_16:
	s_delay_alu instid0(VALU_DEP_1)
	v_dual_mov_b32 v15, v2 :: v_dual_mov_b32 v14, v1
.LBB28_17:
	s_cmp_eq_u32 s11, 1
	v_mov_b32_e32 v1, 0
	s_cselect_b32 s13, -1, 0
	s_cmpk_eq_i32 s9, 0x6f
	s_cselect_b32 s14, -1, 0
	s_cmpk_lg_i32 s9, 0x6f
	s_cselect_b32 s8, -1, 0
	s_cmp_lg_u32 s11, 1
	s_cbranch_scc0 .LBB28_21
; %bb.18:
	v_dual_mov_b32 v17, v1 :: v_dual_mov_b32 v16, v0
	s_and_not1_b32 vcc_lo, exec_lo, s8
	s_cbranch_vccnz .LBB28_20
; %bb.19:
	v_mad_u64_u32 v[16:17], null, v0, s4, 0
	s_delay_alu instid0(VALU_DEP_1) | instskip(NEXT) | instid1(VALU_DEP_1)
	v_mov_b32_e32 v2, v17
	v_mad_u64_u32 v[20:21], null, v0, s5, v[2:3]
	s_delay_alu instid0(VALU_DEP_1)
	v_mov_b32_e32 v17, v20
.LBB28_20:
	s_cbranch_execz .LBB28_22
	s_branch .LBB28_25
.LBB28_21:
                                        ; implicit-def: $vgpr16_vgpr17
.LBB28_22:
	s_and_not1_b32 vcc_lo, exec_lo, s14
	s_cbranch_vccnz .LBB28_24
; %bb.23:
	v_mad_u64_u32 v[1:2], null, v0, s4, 0
	s_delay_alu instid0(VALU_DEP_1) | instskip(NEXT) | instid1(VALU_DEP_1)
	v_mad_u64_u32 v[16:17], null, v0, s5, v[2:3]
	v_mov_b32_e32 v2, v16
	s_delay_alu instid0(VALU_DEP_3) | instskip(NEXT) | instid1(VALU_DEP_2)
	v_mov_b32_e32 v0, v1
	v_mov_b32_e32 v1, v2
.LBB28_24:
	s_delay_alu instid0(VALU_DEP_1)
	v_dual_mov_b32 v17, v1 :: v_dual_mov_b32 v16, v0
.LBB28_25:
	s_load_b64 s[8:9], s[2:3], 0x60
	v_mov_b32_e32 v2, 0
	v_dual_mov_b32 v3, 0 :: v_dual_and_b32 v20, 1, v19
	s_delay_alu instid0(VALU_DEP_2) | instskip(SKIP_1) | instid1(VALU_DEP_2)
	v_mov_b32_e32 v0, v2
	s_mov_b32 s10, exec_lo
	v_mov_b32_e32 v1, v3
	s_delay_alu instid0(VALU_DEP_3)
	v_cmpx_gt_i32_e64 s6, v20
	s_cbranch_execz .LBB28_29
; %bb.26:
	s_xor_b32 s7, s12, s7
	v_and_b32_e32 v19, 1, v19
	s_and_b32 s7, s7, exec_lo
	s_waitcnt lgkmcnt(0)
	s_cselect_b32 s17, 0, s1
	s_cselect_b32 s16, 1, s0
	s_xor_b32 s7, s14, s13
	s_load_b64 s[0:1], s[2:3], 0x40
	s_and_b32 s7, s7, exec_lo
	s_cselect_b32 s5, s5, 0
	s_cselect_b32 s4, s4, 1
	v_mul_lo_u32 v1, s5, v19
	v_mul_lo_u32 v0, s4, v19
	v_lshlrev_b64 v[2:3], 4, v[16:17]
	v_mul_lo_u32 v17, s17, v19
	v_mul_lo_u32 v16, s16, v19
	s_load_b64 s[2:3], s[2:3], 0x30
	v_lshlrev_b64 v[14:15], 4, v[14:15]
	v_lshlrev_b64 v[0:1], 4, v[0:1]
	s_delay_alu instid0(VALU_DEP_1) | instskip(NEXT) | instid1(VALU_DEP_2)
	v_add_co_u32 v2, vcc_lo, v0, v2
	v_add_co_ci_u32_e32 v3, vcc_lo, v1, v3, vcc_lo
	v_lshlrev_b64 v[0:1], 4, v[16:17]
	s_waitcnt lgkmcnt(0)
	s_delay_alu instid0(VALU_DEP_3) | instskip(NEXT) | instid1(VALU_DEP_3)
	v_add_co_u32 v2, vcc_lo, v2, s0
	v_add_co_ci_u32_e32 v3, vcc_lo, s1, v3, vcc_lo
	s_mov_b32 s1, 0
	s_delay_alu instid0(VALU_DEP_3)
	v_add_co_u32 v0, vcc_lo, v0, v14
	v_add_co_ci_u32_e32 v1, vcc_lo, v1, v15, vcc_lo
	v_add_co_u32 v14, vcc_lo, v2, 8
	v_add_co_ci_u32_e32 v15, vcc_lo, 0, v3, vcc_lo
	v_mov_b32_e32 v2, 0
	v_add_co_u32 v0, vcc_lo, v0, s2
	v_add_co_ci_u32_e32 v1, vcc_lo, s3, v1, vcc_lo
	v_mov_b32_e32 v3, 0
	s_delay_alu instid0(VALU_DEP_3) | instskip(NEXT) | instid1(VALU_DEP_3)
	v_add_co_u32 v16, vcc_lo, v0, 8
	v_add_co_ci_u32_e32 v17, vcc_lo, 0, v1, vcc_lo
	v_dual_mov_b32 v19, v20 :: v_dual_mov_b32 v0, v2
	s_delay_alu instid0(VALU_DEP_4)
	v_mov_b32_e32 v1, v3
	s_lshl_b64 s[2:3], s[4:5], 5
	s_lshl_b64 s[4:5], s[16:17], 5
	.p2align	6
.LBB28_27:                              ; =>This Inner Loop Header: Depth=1
	global_load_b128 v[21:24], v[14:15], off offset:-8
	global_load_b128 v[25:28], v[16:17], off offset:-8
	v_add_nc_u32_e32 v19, 2, v19
	v_add_co_u32 v14, vcc_lo, v14, s2
	v_add_co_ci_u32_e32 v15, vcc_lo, s3, v15, vcc_lo
	s_delay_alu instid0(VALU_DEP_3) | instskip(SKIP_1) | instid1(VALU_DEP_1)
	v_cmp_le_i32_e32 vcc_lo, s6, v19
	v_add_co_u32 v16, s0, v16, s4
	v_add_co_ci_u32_e64 v17, s0, s5, v17, s0
	s_or_b32 s1, vcc_lo, s1
	s_waitcnt vmcnt(0)
	v_mul_f64 v[29:30], v[23:24], -v[27:28]
	v_mul_f64 v[23:24], v[23:24], v[25:26]
	s_delay_alu instid0(VALU_DEP_2) | instskip(NEXT) | instid1(VALU_DEP_2)
	v_fma_f64 v[25:26], v[25:26], v[21:22], v[29:30]
	v_fma_f64 v[21:22], v[27:28], v[21:22], v[23:24]
	s_delay_alu instid0(VALU_DEP_2) | instskip(NEXT) | instid1(VALU_DEP_2)
	v_add_f64 v[0:1], v[0:1], v[25:26]
	v_add_f64 v[2:3], v[2:3], v[21:22]
	s_and_not1_b32 exec_lo, exec_lo, s1
	s_cbranch_execnz .LBB28_27
; %bb.28:
	s_or_b32 exec_lo, exec_lo, s1
.LBB28_29:
	s_delay_alu instid0(SALU_CYCLE_1) | instskip(SKIP_2) | instid1(VALU_DEP_2)
	s_or_b32 exec_lo, exec_lo, s10
	v_lshlrev_b32_e32 v14, 5, v18
	v_cmp_eq_u32_e32 vcc_lo, 0, v20
	v_lshl_or_b32 v15, v20, 4, v14
	ds_store_b128 v15, v[0:3]
	s_waitcnt lgkmcnt(0)
	s_barrier
	buffer_gl0_inv
	s_and_saveexec_b32 s0, vcc_lo
	s_cbranch_execz .LBB28_31
; %bb.30:
	ds_load_b128 v[0:3], v14 offset:16
	ds_load_b128 v[16:19], v15
	s_waitcnt lgkmcnt(0)
	v_add_f64 v[0:1], v[0:1], v[16:17]
	v_add_f64 v[2:3], v[2:3], v[18:19]
	ds_store_b128 v15, v[0:3]
.LBB28_31:
	s_or_b32 exec_lo, exec_lo, s0
	s_waitcnt lgkmcnt(0)
	s_barrier
	buffer_gl0_inv
	s_and_b32 exec_lo, exec_lo, vcc_lo
	s_cbranch_execz .LBB28_33
; %bb.32:
	v_lshlrev_b64 v[0:1], 4, v[12:13]
	ds_load_b128 v[12:15], v14
	v_add_co_u32 v16, vcc_lo, s8, v0
	v_add_co_ci_u32_e32 v17, vcc_lo, s9, v1, vcc_lo
	global_load_b128 v[0:3], v[16:17], off
	s_waitcnt lgkmcnt(0)
	v_mul_f64 v[18:19], v[14:15], -v[6:7]
	v_mul_f64 v[14:15], v[4:5], v[14:15]
	s_delay_alu instid0(VALU_DEP_2) | instskip(NEXT) | instid1(VALU_DEP_2)
	v_fma_f64 v[4:5], v[4:5], v[12:13], v[18:19]
	v_fma_f64 v[6:7], v[6:7], v[12:13], v[14:15]
	s_waitcnt vmcnt(0)
	v_mul_f64 v[20:21], v[10:11], -v[2:3]
	v_mul_f64 v[10:11], v[10:11], v[0:1]
	s_delay_alu instid0(VALU_DEP_2) | instskip(NEXT) | instid1(VALU_DEP_2)
	v_fma_f64 v[0:1], v[0:1], v[8:9], v[20:21]
	v_fma_f64 v[2:3], v[2:3], v[8:9], v[10:11]
	s_delay_alu instid0(VALU_DEP_2) | instskip(NEXT) | instid1(VALU_DEP_2)
	v_add_f64 v[0:1], v[0:1], v[4:5]
	v_add_f64 v[2:3], v[2:3], v[6:7]
	global_store_b128 v[16:17], v[0:3], off
.LBB28_33:
	s_nop 0
	s_sendmsg sendmsg(MSG_DEALLOC_VGPRS)
	s_endpgm
	.section	.rodata,"a",@progbits
	.p2align	6, 0x0
	.amdhsa_kernel _ZN9rocsparseL16sddmm_ell_kernelILi512ELi2E21rocsparse_complex_numIdEiiS2_S2_S2_EEv20rocsparse_operation_S3_16rocsparse_order_S4_T3_S5_S5_T2_NS_24const_host_device_scalarIT1_EEPKT4_lPKT5_lS9_PT6_PKS5_21rocsparse_index_base_b
		.amdhsa_group_segment_fixed_size 16384
		.amdhsa_private_segment_fixed_size 0
		.amdhsa_kernarg_size 120
		.amdhsa_user_sgpr_count 15
		.amdhsa_user_sgpr_dispatch_ptr 1
		.amdhsa_user_sgpr_queue_ptr 0
		.amdhsa_user_sgpr_kernarg_segment_ptr 1
		.amdhsa_user_sgpr_dispatch_id 0
		.amdhsa_user_sgpr_private_segment_size 0
		.amdhsa_wavefront_size32 1
		.amdhsa_uses_dynamic_stack 0
		.amdhsa_enable_private_segment 0
		.amdhsa_system_sgpr_workgroup_id_x 1
		.amdhsa_system_sgpr_workgroup_id_y 0
		.amdhsa_system_sgpr_workgroup_id_z 0
		.amdhsa_system_sgpr_workgroup_info 0
		.amdhsa_system_vgpr_workitem_id 2
		.amdhsa_next_free_vgpr 31
		.amdhsa_next_free_sgpr 18
		.amdhsa_reserve_vcc 1
		.amdhsa_float_round_mode_32 0
		.amdhsa_float_round_mode_16_64 0
		.amdhsa_float_denorm_mode_32 3
		.amdhsa_float_denorm_mode_16_64 3
		.amdhsa_dx10_clamp 1
		.amdhsa_ieee_mode 1
		.amdhsa_fp16_overflow 0
		.amdhsa_workgroup_processor_mode 1
		.amdhsa_memory_ordered 1
		.amdhsa_forward_progress 0
		.amdhsa_shared_vgpr_count 0
		.amdhsa_exception_fp_ieee_invalid_op 0
		.amdhsa_exception_fp_denorm_src 0
		.amdhsa_exception_fp_ieee_div_zero 0
		.amdhsa_exception_fp_ieee_overflow 0
		.amdhsa_exception_fp_ieee_underflow 0
		.amdhsa_exception_fp_ieee_inexact 0
		.amdhsa_exception_int_div_zero 0
	.end_amdhsa_kernel
	.section	.text._ZN9rocsparseL16sddmm_ell_kernelILi512ELi2E21rocsparse_complex_numIdEiiS2_S2_S2_EEv20rocsparse_operation_S3_16rocsparse_order_S4_T3_S5_S5_T2_NS_24const_host_device_scalarIT1_EEPKT4_lPKT5_lS9_PT6_PKS5_21rocsparse_index_base_b,"axG",@progbits,_ZN9rocsparseL16sddmm_ell_kernelILi512ELi2E21rocsparse_complex_numIdEiiS2_S2_S2_EEv20rocsparse_operation_S3_16rocsparse_order_S4_T3_S5_S5_T2_NS_24const_host_device_scalarIT1_EEPKT4_lPKT5_lS9_PT6_PKS5_21rocsparse_index_base_b,comdat
.Lfunc_end28:
	.size	_ZN9rocsparseL16sddmm_ell_kernelILi512ELi2E21rocsparse_complex_numIdEiiS2_S2_S2_EEv20rocsparse_operation_S3_16rocsparse_order_S4_T3_S5_S5_T2_NS_24const_host_device_scalarIT1_EEPKT4_lPKT5_lS9_PT6_PKS5_21rocsparse_index_base_b, .Lfunc_end28-_ZN9rocsparseL16sddmm_ell_kernelILi512ELi2E21rocsparse_complex_numIdEiiS2_S2_S2_EEv20rocsparse_operation_S3_16rocsparse_order_S4_T3_S5_S5_T2_NS_24const_host_device_scalarIT1_EEPKT4_lPKT5_lS9_PT6_PKS5_21rocsparse_index_base_b
                                        ; -- End function
	.section	.AMDGPU.csdata,"",@progbits
; Kernel info:
; codeLenInByte = 1708
; NumSgprs: 20
; NumVgprs: 31
; ScratchSize: 0
; MemoryBound: 0
; FloatMode: 240
; IeeeMode: 1
; LDSByteSize: 16384 bytes/workgroup (compile time only)
; SGPRBlocks: 2
; VGPRBlocks: 3
; NumSGPRsForWavesPerEU: 20
; NumVGPRsForWavesPerEU: 31
; Occupancy: 16
; WaveLimiterHint : 0
; COMPUTE_PGM_RSRC2:SCRATCH_EN: 0
; COMPUTE_PGM_RSRC2:USER_SGPR: 15
; COMPUTE_PGM_RSRC2:TRAP_HANDLER: 0
; COMPUTE_PGM_RSRC2:TGID_X_EN: 1
; COMPUTE_PGM_RSRC2:TGID_Y_EN: 0
; COMPUTE_PGM_RSRC2:TGID_Z_EN: 0
; COMPUTE_PGM_RSRC2:TIDIG_COMP_CNT: 2
	.section	.text._ZN9rocsparseL16sddmm_ell_kernelILi512ELi1E21rocsparse_complex_numIdEiiS2_S2_S2_EEv20rocsparse_operation_S3_16rocsparse_order_S4_T3_S5_S5_T2_NS_24const_host_device_scalarIT1_EEPKT4_lPKT5_lS9_PT6_PKS5_21rocsparse_index_base_b,"axG",@progbits,_ZN9rocsparseL16sddmm_ell_kernelILi512ELi1E21rocsparse_complex_numIdEiiS2_S2_S2_EEv20rocsparse_operation_S3_16rocsparse_order_S4_T3_S5_S5_T2_NS_24const_host_device_scalarIT1_EEPKT4_lPKT5_lS9_PT6_PKS5_21rocsparse_index_base_b,comdat
	.globl	_ZN9rocsparseL16sddmm_ell_kernelILi512ELi1E21rocsparse_complex_numIdEiiS2_S2_S2_EEv20rocsparse_operation_S3_16rocsparse_order_S4_T3_S5_S5_T2_NS_24const_host_device_scalarIT1_EEPKT4_lPKT5_lS9_PT6_PKS5_21rocsparse_index_base_b ; -- Begin function _ZN9rocsparseL16sddmm_ell_kernelILi512ELi1E21rocsparse_complex_numIdEiiS2_S2_S2_EEv20rocsparse_operation_S3_16rocsparse_order_S4_T3_S5_S5_T2_NS_24const_host_device_scalarIT1_EEPKT4_lPKT5_lS9_PT6_PKS5_21rocsparse_index_base_b
	.p2align	8
	.type	_ZN9rocsparseL16sddmm_ell_kernelILi512ELi1E21rocsparse_complex_numIdEiiS2_S2_S2_EEv20rocsparse_operation_S3_16rocsparse_order_S4_T3_S5_S5_T2_NS_24const_host_device_scalarIT1_EEPKT4_lPKT5_lS9_PT6_PKS5_21rocsparse_index_base_b,@function
_ZN9rocsparseL16sddmm_ell_kernelILi512ELi1E21rocsparse_complex_numIdEiiS2_S2_S2_EEv20rocsparse_operation_S3_16rocsparse_order_S4_T3_S5_S5_T2_NS_24const_host_device_scalarIT1_EEPKT4_lPKT5_lS9_PT6_PKS5_21rocsparse_index_base_b: ; @_ZN9rocsparseL16sddmm_ell_kernelILi512ELi1E21rocsparse_complex_numIdEiiS2_S2_S2_EEv20rocsparse_operation_S3_16rocsparse_order_S4_T3_S5_S5_T2_NS_24const_host_device_scalarIT1_EEPKT4_lPKT5_lS9_PT6_PKS5_21rocsparse_index_base_b
; %bb.0:
	s_clause 0x1
	s_load_b64 s[12:13], s[2:3], 0x70
	s_load_b128 s[8:11], s[2:3], 0x20
	s_load_b64 s[16:17], s[0:1], 0x4
	s_mov_b64 s[0:1], src_shared_base
	v_and_b32_e32 v18, 0x3ff, v0
	s_load_b128 s[4:7], s[2:3], 0x48
	v_bfe_u32 v2, v0, 10, 10
	v_bfe_u32 v0, v0, 20, 10
	s_waitcnt lgkmcnt(0)
	s_bitcmp1_b32 s13, 0
	s_cselect_b32 s0, -1, 0
	s_delay_alu instid0(SALU_CYCLE_1) | instskip(SKIP_4) | instid1(SALU_CYCLE_1)
	s_and_b32 vcc_lo, s0, exec_lo
	s_cselect_b32 s13, s1, s9
	s_lshr_b32 s14, s16, 16
	v_mov_b32_e32 v5, s13
	s_mul_i32 s14, s14, s17
	v_mul_lo_u32 v1, s14, v18
	s_delay_alu instid0(VALU_DEP_1) | instskip(SKIP_2) | instid1(VALU_DEP_2)
	v_mad_u32_u24 v1, v2, s17, v1
	s_load_b64 s[16:17], s[2:3], 0x58
	v_dual_mov_b32 v2, s6 :: v_dual_mov_b32 v3, s7
	v_add_lshl_u32 v6, v1, v0, 3
	v_dual_mov_b32 v0, s8 :: v_dual_mov_b32 v1, s9
	s_delay_alu instid0(VALU_DEP_2)
	v_add_nc_u32_e32 v4, 0x3000, v6
	ds_store_2addr_stride64_b64 v6, v[2:3], v[0:1] offset0:16 offset1:24
	v_add_nc_u32_e32 v0, 0x2000, v6
	v_mov_b32_e32 v6, s10
	v_cndmask_b32_e64 v4, s8, v4, s0
	v_mov_b32_e32 v7, s11
	s_xor_b32 s10, s0, -1
	flat_load_b64 v[4:5], v[4:5]
	s_cbranch_vccnz .LBB29_2
; %bb.1:
	v_dual_mov_b32 v1, s8 :: v_dual_mov_b32 v2, s9
	flat_load_b64 v[6:7], v[1:2] offset:8
.LBB29_2:
	s_and_b32 s8, s0, exec_lo
	s_cselect_b32 s1, s1, s7
	v_cndmask_b32_e64 v0, s6, v0, s0
	s_waitcnt lgkmcnt(0)
	v_dual_mov_b32 v1, s1 :: v_dual_mov_b32 v10, s16
	v_mov_b32_e32 v11, s17
	s_and_not1_b32 vcc_lo, exec_lo, s10
	flat_load_b64 v[8:9], v[0:1]
	s_cbranch_vccnz .LBB29_4
; %bb.3:
	v_dual_mov_b32 v0, s6 :: v_dual_mov_b32 v1, s7
	flat_load_b64 v[10:11], v[0:1] offset:8
.LBB29_4:
	s_waitcnt vmcnt(1)
	v_cmp_eq_f64_e32 vcc_lo, 0, v[4:5]
	v_cmp_eq_f64_e64 s0, 0, v[6:7]
	s_delay_alu instid0(VALU_DEP_1)
	s_and_b32 s6, vcc_lo, s0
	s_mov_b32 s0, -1
	s_and_saveexec_b32 s1, s6
	s_cbranch_execz .LBB29_6
; %bb.5:
	s_waitcnt vmcnt(0) lgkmcnt(0)
	v_cmp_neq_f64_e32 vcc_lo, 1.0, v[8:9]
	v_cmp_neq_f64_e64 s0, 0, v[10:11]
	s_delay_alu instid0(VALU_DEP_1) | instskip(NEXT) | instid1(SALU_CYCLE_1)
	s_or_b32 s0, vcc_lo, s0
	s_or_not1_b32 s0, s0, exec_lo
.LBB29_6:
	s_or_b32 exec_lo, exec_lo, s1
	s_and_saveexec_b32 s1, s0
	s_cbranch_execz .LBB29_29
; %bb.7:
	s_load_b64 s[0:1], s[2:3], 0x18
	v_lshl_or_b32 v12, s15, 9, v18
	s_waitcnt lgkmcnt(0)
	s_delay_alu instid0(VALU_DEP_1)
	v_cmp_gt_i32_e32 vcc_lo, s1, v12
	s_and_b32 exec_lo, exec_lo, vcc_lo
	s_cbranch_execz .LBB29_29
; %bb.8:
	s_load_b64 s[6:7], s[2:3], 0x68
	v_ashrrev_i32_e32 v13, 31, v12
	s_mov_b32 s13, -1
	s_delay_alu instid0(VALU_DEP_1) | instskip(SKIP_1) | instid1(VALU_DEP_1)
	v_lshlrev_b64 v[0:1], 2, v[12:13]
	s_waitcnt lgkmcnt(0)
	v_add_co_u32 v0, vcc_lo, s6, v0
	s_delay_alu instid0(VALU_DEP_2) | instskip(SKIP_3) | instid1(VALU_DEP_1)
	v_add_co_ci_u32_e32 v1, vcc_lo, s7, v1, vcc_lo
	global_load_b32 v0, v[0:1], off
	s_waitcnt vmcnt(0)
	v_subrev_nc_u32_e32 v0, s12, v0
	v_cmp_lt_i32_e32 vcc_lo, -1, v0
	s_and_b32 exec_lo, exec_lo, vcc_lo
	s_cbranch_execz .LBB29_29
; %bb.9:
	s_clause 0x1
	s_load_b128 s[8:11], s[2:3], 0x0
	s_load_b32 s6, s[2:3], 0x10
	v_sub_nc_u32_e32 v3, 0, v12
	s_waitcnt lgkmcnt(0)
	s_cmp_eq_u32 s10, 1
	s_cselect_b32 s1, -1, 0
	s_cmpk_eq_i32 s8, 0x6f
	s_cselect_b32 s12, -1, 0
	s_cmpk_lg_i32 s8, 0x6f
	s_cselect_b32 s8, -1, 0
	s_abs_i32 s14, s6
	s_delay_alu instid0(SALU_CYCLE_1) | instskip(SKIP_2) | instid1(VALU_DEP_1)
	v_cvt_f32_u32_e32 v1, s14
	s_sub_i32 s6, 0, s14
	s_cmp_lg_u32 s10, 1
	v_rcp_iflag_f32_e32 v1, v1
	s_waitcnt_depctr 0xfff
	v_mul_f32_e32 v1, 0x4f7ffffe, v1
	s_delay_alu instid0(VALU_DEP_1) | instskip(NEXT) | instid1(VALU_DEP_1)
	v_cvt_u32_f32_e32 v1, v1
	v_mul_lo_u32 v2, s6, v1
	s_load_b64 s[6:7], s[2:3], 0x38
	s_delay_alu instid0(VALU_DEP_1) | instskip(NEXT) | instid1(VALU_DEP_1)
	v_mul_hi_u32 v2, v1, v2
	v_add_nc_u32_e32 v1, v1, v2
	v_max_i32_e32 v2, v12, v3
	s_delay_alu instid0(VALU_DEP_1) | instskip(NEXT) | instid1(VALU_DEP_1)
	v_mul_hi_u32 v1, v2, v1
	v_mul_lo_u32 v1, v1, s14
	s_delay_alu instid0(VALU_DEP_1) | instskip(NEXT) | instid1(VALU_DEP_1)
	v_sub_nc_u32_e32 v1, v2, v1
	v_subrev_nc_u32_e32 v2, s14, v1
	v_cmp_le_u32_e32 vcc_lo, s14, v1
	s_delay_alu instid0(VALU_DEP_2) | instskip(NEXT) | instid1(VALU_DEP_1)
	v_cndmask_b32_e32 v1, v1, v2, vcc_lo
	v_subrev_nc_u32_e32 v2, s14, v1
	v_cmp_le_u32_e32 vcc_lo, s14, v1
	s_delay_alu instid0(VALU_DEP_2) | instskip(NEXT) | instid1(VALU_DEP_1)
	v_cndmask_b32_e32 v1, v1, v2, vcc_lo
	v_xor_b32_e32 v1, v1, v13
	s_delay_alu instid0(VALU_DEP_1) | instskip(NEXT) | instid1(VALU_DEP_1)
	v_sub_nc_u32_e32 v1, v1, v13
	v_ashrrev_i32_e32 v2, 31, v1
	s_cbranch_scc0 .LBB29_13
; %bb.10:
	s_delay_alu instid0(VALU_DEP_1)
	v_dual_mov_b32 v15, v2 :: v_dual_mov_b32 v14, v1
	s_and_not1_b32 vcc_lo, exec_lo, s12
	s_cbranch_vccnz .LBB29_12
; %bb.11:
	s_waitcnt lgkmcnt(0)
	v_mul_lo_u32 v3, v2, s6
	v_mul_lo_u32 v16, v1, s7
	v_mad_u64_u32 v[14:15], null, v1, s6, 0
	s_delay_alu instid0(VALU_DEP_1)
	v_add3_u32 v15, v15, v16, v3
.LBB29_12:
	s_cbranch_execz .LBB29_14
	s_branch .LBB29_17
.LBB29_13:
                                        ; implicit-def: $vgpr14_vgpr15
	s_and_not1_b32 vcc_lo, exec_lo, s13
	s_cbranch_vccnz .LBB29_17
.LBB29_14:
	s_and_not1_b32 vcc_lo, exec_lo, s8
	s_cbranch_vccnz .LBB29_16
; %bb.15:
	s_waitcnt lgkmcnt(0)
	v_mul_lo_u32 v14, v2, s6
	v_mul_lo_u32 v15, v1, s7
	v_mad_u64_u32 v[2:3], null, v1, s6, 0
	s_delay_alu instid0(VALU_DEP_1) | instskip(NEXT) | instid1(VALU_DEP_2)
	v_add3_u32 v3, v3, v15, v14
	v_mov_b32_e32 v1, v2
	s_delay_alu instid0(VALU_DEP_2)
	v_mov_b32_e32 v2, v3
.LBB29_16:
	s_delay_alu instid0(VALU_DEP_1)
	v_dual_mov_b32 v15, v2 :: v_dual_mov_b32 v14, v1
.LBB29_17:
	s_cmp_eq_u32 s11, 1
	v_mov_b32_e32 v1, 0
	s_cselect_b32 s10, -1, 0
	s_cmpk_eq_i32 s9, 0x6f
	s_cselect_b32 s13, -1, 0
	s_cmpk_lg_i32 s9, 0x6f
	s_cselect_b32 s8, -1, 0
	s_cmp_lg_u32 s11, 1
	s_cbranch_scc0 .LBB29_21
; %bb.18:
	v_dual_mov_b32 v17, v1 :: v_dual_mov_b32 v16, v0
	s_and_not1_b32 vcc_lo, exec_lo, s8
	s_cbranch_vccnz .LBB29_20
; %bb.19:
	v_mad_u64_u32 v[16:17], null, v0, s4, 0
	s_delay_alu instid0(VALU_DEP_1) | instskip(NEXT) | instid1(VALU_DEP_1)
	v_mov_b32_e32 v2, v17
	v_mad_u64_u32 v[19:20], null, v0, s5, v[2:3]
	s_delay_alu instid0(VALU_DEP_1)
	v_mov_b32_e32 v17, v19
.LBB29_20:
	s_cbranch_execz .LBB29_22
	s_branch .LBB29_25
.LBB29_21:
                                        ; implicit-def: $vgpr16_vgpr17
.LBB29_22:
	s_and_not1_b32 vcc_lo, exec_lo, s13
	s_cbranch_vccnz .LBB29_24
; %bb.23:
	v_mad_u64_u32 v[1:2], null, v0, s4, 0
	s_delay_alu instid0(VALU_DEP_1) | instskip(NEXT) | instid1(VALU_DEP_1)
	v_mad_u64_u32 v[16:17], null, v0, s5, v[2:3]
	v_mov_b32_e32 v2, v16
	s_delay_alu instid0(VALU_DEP_3) | instskip(NEXT) | instid1(VALU_DEP_2)
	v_mov_b32_e32 v0, v1
	v_mov_b32_e32 v1, v2
.LBB29_24:
	s_delay_alu instid0(VALU_DEP_1)
	v_dual_mov_b32 v17, v1 :: v_dual_mov_b32 v16, v0
.LBB29_25:
	s_load_b64 s[8:9], s[2:3], 0x60
	v_mov_b32_e32 v2, 0
	v_mov_b32_e32 v3, 0
	s_delay_alu instid0(VALU_DEP_2) | instskip(SKIP_1) | instid1(VALU_DEP_2)
	v_mov_b32_e32 v0, v2
	s_cmp_lt_i32 s0, 1
	v_mov_b32_e32 v1, v3
	s_cbranch_scc1 .LBB29_28
; %bb.26:
	s_clause 0x1
	s_load_b64 s[14:15], s[2:3], 0x30
	s_load_b64 s[2:3], s[2:3], 0x40
	v_lshlrev_b64 v[0:1], 4, v[14:15]
	v_lshlrev_b64 v[14:15], 4, v[16:17]
	v_mov_b32_e32 v2, 0
	s_xor_b32 s1, s12, s1
	v_mov_b32_e32 v3, 0
	s_and_b32 s1, s1, exec_lo
	s_waitcnt lgkmcnt(0)
	s_cselect_b32 s7, 0, s7
	s_cselect_b32 s6, 1, s6
	s_xor_b32 s1, s13, s10
	s_delay_alu instid0(SALU_CYCLE_1) | instskip(SKIP_2) | instid1(SALU_CYCLE_1)
	s_and_b32 s1, s1, exec_lo
	s_cselect_b32 s5, s5, 0
	s_cselect_b32 s4, s4, 1
	s_lshl_b64 s[4:5], s[4:5], 4
	v_add_co_u32 v0, vcc_lo, v0, s14
	v_add_co_ci_u32_e32 v1, vcc_lo, s15, v1, vcc_lo
	v_add_co_u32 v16, vcc_lo, v14, s2
	v_add_co_ci_u32_e32 v17, vcc_lo, s3, v15, vcc_lo
	s_delay_alu instid0(VALU_DEP_4) | instskip(NEXT) | instid1(VALU_DEP_4)
	v_add_co_u32 v14, vcc_lo, v0, 8
	v_add_co_ci_u32_e32 v15, vcc_lo, 0, v1, vcc_lo
	s_delay_alu instid0(VALU_DEP_4) | instskip(NEXT) | instid1(VALU_DEP_4)
	v_add_co_u32 v16, vcc_lo, v16, 8
	v_add_co_ci_u32_e32 v17, vcc_lo, 0, v17, vcc_lo
	v_dual_mov_b32 v0, v2 :: v_dual_mov_b32 v1, v3
	s_lshl_b64 s[2:3], s[6:7], 4
	.p2align	6
.LBB29_27:                              ; =>This Inner Loop Header: Depth=1
	global_load_b128 v[19:22], v[16:17], off offset:-8
	global_load_b128 v[23:26], v[14:15], off offset:-8
	v_add_co_u32 v14, vcc_lo, v14, s2
	v_add_co_ci_u32_e32 v15, vcc_lo, s3, v15, vcc_lo
	v_add_co_u32 v16, vcc_lo, v16, s4
	v_add_co_ci_u32_e32 v17, vcc_lo, s5, v17, vcc_lo
	s_add_i32 s0, s0, -1
	s_delay_alu instid0(SALU_CYCLE_1) | instskip(SKIP_3) | instid1(VALU_DEP_2)
	s_cmp_eq_u32 s0, 0
	s_waitcnt vmcnt(0)
	v_mul_f64 v[27:28], v[21:22], -v[25:26]
	v_mul_f64 v[21:22], v[21:22], v[23:24]
	v_fma_f64 v[23:24], v[23:24], v[19:20], v[27:28]
	s_delay_alu instid0(VALU_DEP_2) | instskip(NEXT) | instid1(VALU_DEP_2)
	v_fma_f64 v[19:20], v[25:26], v[19:20], v[21:22]
	v_add_f64 v[0:1], v[0:1], v[23:24]
	s_delay_alu instid0(VALU_DEP_2)
	v_add_f64 v[2:3], v[2:3], v[19:20]
	s_cbranch_scc0 .LBB29_27
.LBB29_28:
	v_lshlrev_b64 v[12:13], 4, v[12:13]
	v_lshlrev_b32_e32 v14, 4, v18
	ds_store_b128 v14, v[0:3]
	s_waitcnt lgkmcnt(0)
	v_add_co_u32 v16, vcc_lo, s8, v12
	v_add_co_ci_u32_e32 v17, vcc_lo, s9, v13, vcc_lo
	s_barrier
	buffer_gl0_inv
	global_load_b128 v[0:3], v[16:17], off
	ds_load_b128 v[12:15], v14
	s_waitcnt lgkmcnt(0)
	v_mul_f64 v[18:19], v[14:15], -v[6:7]
	v_mul_f64 v[14:15], v[4:5], v[14:15]
	s_delay_alu instid0(VALU_DEP_2) | instskip(NEXT) | instid1(VALU_DEP_2)
	v_fma_f64 v[4:5], v[4:5], v[12:13], v[18:19]
	v_fma_f64 v[6:7], v[6:7], v[12:13], v[14:15]
	s_waitcnt vmcnt(0)
	v_mul_f64 v[20:21], v[10:11], -v[2:3]
	v_mul_f64 v[10:11], v[10:11], v[0:1]
	s_delay_alu instid0(VALU_DEP_2) | instskip(NEXT) | instid1(VALU_DEP_2)
	v_fma_f64 v[0:1], v[0:1], v[8:9], v[20:21]
	v_fma_f64 v[2:3], v[2:3], v[8:9], v[10:11]
	s_delay_alu instid0(VALU_DEP_2) | instskip(NEXT) | instid1(VALU_DEP_2)
	v_add_f64 v[0:1], v[0:1], v[4:5]
	v_add_f64 v[2:3], v[2:3], v[6:7]
	global_store_b128 v[16:17], v[0:3], off
.LBB29_29:
	s_nop 0
	s_sendmsg sendmsg(MSG_DEALLOC_VGPRS)
	s_endpgm
	.section	.rodata,"a",@progbits
	.p2align	6, 0x0
	.amdhsa_kernel _ZN9rocsparseL16sddmm_ell_kernelILi512ELi1E21rocsparse_complex_numIdEiiS2_S2_S2_EEv20rocsparse_operation_S3_16rocsparse_order_S4_T3_S5_S5_T2_NS_24const_host_device_scalarIT1_EEPKT4_lPKT5_lS9_PT6_PKS5_21rocsparse_index_base_b
		.amdhsa_group_segment_fixed_size 16384
		.amdhsa_private_segment_fixed_size 0
		.amdhsa_kernarg_size 120
		.amdhsa_user_sgpr_count 15
		.amdhsa_user_sgpr_dispatch_ptr 1
		.amdhsa_user_sgpr_queue_ptr 0
		.amdhsa_user_sgpr_kernarg_segment_ptr 1
		.amdhsa_user_sgpr_dispatch_id 0
		.amdhsa_user_sgpr_private_segment_size 0
		.amdhsa_wavefront_size32 1
		.amdhsa_uses_dynamic_stack 0
		.amdhsa_enable_private_segment 0
		.amdhsa_system_sgpr_workgroup_id_x 1
		.amdhsa_system_sgpr_workgroup_id_y 0
		.amdhsa_system_sgpr_workgroup_id_z 0
		.amdhsa_system_sgpr_workgroup_info 0
		.amdhsa_system_vgpr_workitem_id 2
		.amdhsa_next_free_vgpr 29
		.amdhsa_next_free_sgpr 18
		.amdhsa_reserve_vcc 1
		.amdhsa_float_round_mode_32 0
		.amdhsa_float_round_mode_16_64 0
		.amdhsa_float_denorm_mode_32 3
		.amdhsa_float_denorm_mode_16_64 3
		.amdhsa_dx10_clamp 1
		.amdhsa_ieee_mode 1
		.amdhsa_fp16_overflow 0
		.amdhsa_workgroup_processor_mode 1
		.amdhsa_memory_ordered 1
		.amdhsa_forward_progress 0
		.amdhsa_shared_vgpr_count 0
		.amdhsa_exception_fp_ieee_invalid_op 0
		.amdhsa_exception_fp_denorm_src 0
		.amdhsa_exception_fp_ieee_div_zero 0
		.amdhsa_exception_fp_ieee_overflow 0
		.amdhsa_exception_fp_ieee_underflow 0
		.amdhsa_exception_fp_ieee_inexact 0
		.amdhsa_exception_int_div_zero 0
	.end_amdhsa_kernel
	.section	.text._ZN9rocsparseL16sddmm_ell_kernelILi512ELi1E21rocsparse_complex_numIdEiiS2_S2_S2_EEv20rocsparse_operation_S3_16rocsparse_order_S4_T3_S5_S5_T2_NS_24const_host_device_scalarIT1_EEPKT4_lPKT5_lS9_PT6_PKS5_21rocsparse_index_base_b,"axG",@progbits,_ZN9rocsparseL16sddmm_ell_kernelILi512ELi1E21rocsparse_complex_numIdEiiS2_S2_S2_EEv20rocsparse_operation_S3_16rocsparse_order_S4_T3_S5_S5_T2_NS_24const_host_device_scalarIT1_EEPKT4_lPKT5_lS9_PT6_PKS5_21rocsparse_index_base_b,comdat
.Lfunc_end29:
	.size	_ZN9rocsparseL16sddmm_ell_kernelILi512ELi1E21rocsparse_complex_numIdEiiS2_S2_S2_EEv20rocsparse_operation_S3_16rocsparse_order_S4_T3_S5_S5_T2_NS_24const_host_device_scalarIT1_EEPKT4_lPKT5_lS9_PT6_PKS5_21rocsparse_index_base_b, .Lfunc_end29-_ZN9rocsparseL16sddmm_ell_kernelILi512ELi1E21rocsparse_complex_numIdEiiS2_S2_S2_EEv20rocsparse_operation_S3_16rocsparse_order_S4_T3_S5_S5_T2_NS_24const_host_device_scalarIT1_EEPKT4_lPKT5_lS9_PT6_PKS5_21rocsparse_index_base_b
                                        ; -- End function
	.section	.AMDGPU.csdata,"",@progbits
; Kernel info:
; codeLenInByte = 1480
; NumSgprs: 20
; NumVgprs: 29
; ScratchSize: 0
; MemoryBound: 0
; FloatMode: 240
; IeeeMode: 1
; LDSByteSize: 16384 bytes/workgroup (compile time only)
; SGPRBlocks: 2
; VGPRBlocks: 3
; NumSGPRsForWavesPerEU: 20
; NumVGPRsForWavesPerEU: 29
; Occupancy: 16
; WaveLimiterHint : 0
; COMPUTE_PGM_RSRC2:SCRATCH_EN: 0
; COMPUTE_PGM_RSRC2:USER_SGPR: 15
; COMPUTE_PGM_RSRC2:TRAP_HANDLER: 0
; COMPUTE_PGM_RSRC2:TGID_X_EN: 1
; COMPUTE_PGM_RSRC2:TGID_Y_EN: 0
; COMPUTE_PGM_RSRC2:TGID_Z_EN: 0
; COMPUTE_PGM_RSRC2:TIDIG_COMP_CNT: 2
	.section	.text._ZN9rocsparseL23sddmm_ell_sample_kernelILi16ELi32EDF16_lDF16_EEvT2_S1_PKT3_lS1_PS2_PKS1_21rocsparse_index_base_,"axG",@progbits,_ZN9rocsparseL23sddmm_ell_sample_kernelILi16ELi32EDF16_lDF16_EEvT2_S1_PKT3_lS1_PS2_PKS1_21rocsparse_index_base_,comdat
	.globl	_ZN9rocsparseL23sddmm_ell_sample_kernelILi16ELi32EDF16_lDF16_EEvT2_S1_PKT3_lS1_PS2_PKS1_21rocsparse_index_base_ ; -- Begin function _ZN9rocsparseL23sddmm_ell_sample_kernelILi16ELi32EDF16_lDF16_EEvT2_S1_PKT3_lS1_PS2_PKS1_21rocsparse_index_base_
	.p2align	8
	.type	_ZN9rocsparseL23sddmm_ell_sample_kernelILi16ELi32EDF16_lDF16_EEvT2_S1_PKT3_lS1_PS2_PKS1_21rocsparse_index_base_,@function
_ZN9rocsparseL23sddmm_ell_sample_kernelILi16ELi32EDF16_lDF16_EEvT2_S1_PKT3_lS1_PS2_PKS1_21rocsparse_index_base_: ; @_ZN9rocsparseL23sddmm_ell_sample_kernelILi16ELi32EDF16_lDF16_EEvT2_S1_PKT3_lS1_PS2_PKS1_21rocsparse_index_base_
; %bb.0:
	s_load_b128 s[8:11], s[0:1], 0x18
	v_lshrrev_b32_e32 v2, 5, v0
	v_mov_b32_e32 v1, 0
	s_mov_b32 s2, exec_lo
	s_delay_alu instid0(VALU_DEP_2) | instskip(NEXT) | instid1(VALU_DEP_2)
	v_lshl_or_b32 v2, s15, 4, v2
	v_mov_b32_e32 v3, v1
	s_waitcnt lgkmcnt(0)
	s_delay_alu instid0(VALU_DEP_1)
	v_cmpx_gt_i64_e64 s[10:11], v[2:3]
	s_cbranch_execz .LBB30_6
; %bb.1:
	s_load_b128 s[4:7], s[0:1], 0x0
	v_and_b32_e32 v0, 31, v0
	s_waitcnt lgkmcnt(0)
	s_delay_alu instid0(VALU_DEP_1)
	v_cmp_gt_i64_e32 vcc_lo, s[4:5], v[0:1]
	s_and_b32 exec_lo, exec_lo, vcc_lo
	s_cbranch_execz .LBB30_6
; %bb.2:
	v_mad_u64_u32 v[3:4], null, v2, s4, v[0:1]
	s_clause 0x2
	s_load_b128 s[12:15], s[0:1], 0x28
	s_load_b64 s[2:3], s[0:1], 0x10
	s_load_b32 s1, s[0:1], 0x38
	s_mov_b32 s10, 0
	v_lshlrev_b32_e32 v9, 1, v0
	s_delay_alu instid0(VALU_DEP_2) | instskip(NEXT) | instid1(VALU_DEP_1)
	v_mad_u64_u32 v[5:6], null, v2, s5, v[4:5]
	v_mov_b32_e32 v4, v5
	s_delay_alu instid0(VALU_DEP_1) | instskip(SKIP_2) | instid1(VALU_DEP_2)
	v_lshlrev_b64 v[5:6], 3, v[3:4]
	v_lshlrev_b64 v[7:8], 1, v[3:4]
	s_waitcnt lgkmcnt(0)
	v_add_co_u32 v2, vcc_lo, s14, v5
	s_delay_alu instid0(VALU_DEP_3) | instskip(NEXT) | instid1(VALU_DEP_3)
	v_add_co_ci_u32_e32 v3, vcc_lo, s15, v6, vcc_lo
	v_add_co_u32 v4, vcc_lo, s12, v7
	v_add_co_u32 v6, s0, s2, v9
	v_add_co_ci_u32_e32 v5, vcc_lo, s13, v8, vcc_lo
	v_add_co_ci_u32_e64 v7, null, s3, 0, s0
	s_lshl_b64 s[2:3], s[8:9], 1
	s_set_inst_prefetch_distance 0x1
	s_branch .LBB30_4
	.p2align	6
.LBB30_3:                               ;   in Loop: Header=BB30_4 Depth=1
	s_or_b32 exec_lo, exec_lo, s0
	v_add_co_u32 v0, vcc_lo, v0, 32
	v_add_co_ci_u32_e32 v1, vcc_lo, 0, v1, vcc_lo
	v_add_co_u32 v2, vcc_lo, 0x100, v2
	v_add_co_ci_u32_e32 v3, vcc_lo, 0, v3, vcc_lo
	;; [unrolled: 2-line block ×3, first 2 shown]
	v_cmp_le_i64_e32 vcc_lo, s[4:5], v[0:1]
	v_add_co_u32 v6, s0, v6, 64
	s_delay_alu instid0(VALU_DEP_1) | instskip(SKIP_1) | instid1(SALU_CYCLE_1)
	v_add_co_ci_u32_e64 v7, s0, 0, v7, s0
	s_or_b32 s10, vcc_lo, s10
	s_and_not1_b32 exec_lo, exec_lo, s10
	s_cbranch_execz .LBB30_6
.LBB30_4:                               ; =>This Inner Loop Header: Depth=1
	global_load_b64 v[8:9], v[2:3], off
	s_waitcnt vmcnt(0)
	v_sub_co_u32 v8, vcc_lo, v8, s1
	v_subrev_co_ci_u32_e32 v9, vcc_lo, 0, v9, vcc_lo
	s_delay_alu instid0(VALU_DEP_1) | instskip(SKIP_1) | instid1(VALU_DEP_1)
	v_cmp_lt_i64_e32 vcc_lo, -1, v[8:9]
	v_cmp_gt_i64_e64 s0, s[6:7], v[8:9]
	s_and_b32 s8, vcc_lo, s0
	s_delay_alu instid0(SALU_CYCLE_1)
	s_and_saveexec_b32 s0, s8
	s_cbranch_execz .LBB30_3
; %bb.5:                                ;   in Loop: Header=BB30_4 Depth=1
	v_mad_u64_u32 v[10:11], null, s2, v8, v[6:7]
	v_mul_lo_u32 v9, s2, v9
	v_mul_lo_u32 v8, s3, v8
	s_delay_alu instid0(VALU_DEP_1)
	v_add3_u32 v11, v8, v11, v9
	global_load_u16 v8, v[10:11], off
	s_waitcnt vmcnt(0)
	global_store_b16 v[4:5], v8, off
	s_branch .LBB30_3
.LBB30_6:
	s_set_inst_prefetch_distance 0x2
	s_nop 0
	s_sendmsg sendmsg(MSG_DEALLOC_VGPRS)
	s_endpgm
	.section	.rodata,"a",@progbits
	.p2align	6, 0x0
	.amdhsa_kernel _ZN9rocsparseL23sddmm_ell_sample_kernelILi16ELi32EDF16_lDF16_EEvT2_S1_PKT3_lS1_PS2_PKS1_21rocsparse_index_base_
		.amdhsa_group_segment_fixed_size 0
		.amdhsa_private_segment_fixed_size 0
		.amdhsa_kernarg_size 60
		.amdhsa_user_sgpr_count 15
		.amdhsa_user_sgpr_dispatch_ptr 0
		.amdhsa_user_sgpr_queue_ptr 0
		.amdhsa_user_sgpr_kernarg_segment_ptr 1
		.amdhsa_user_sgpr_dispatch_id 0
		.amdhsa_user_sgpr_private_segment_size 0
		.amdhsa_wavefront_size32 1
		.amdhsa_uses_dynamic_stack 0
		.amdhsa_enable_private_segment 0
		.amdhsa_system_sgpr_workgroup_id_x 1
		.amdhsa_system_sgpr_workgroup_id_y 0
		.amdhsa_system_sgpr_workgroup_id_z 0
		.amdhsa_system_sgpr_workgroup_info 0
		.amdhsa_system_vgpr_workitem_id 0
		.amdhsa_next_free_vgpr 12
		.amdhsa_next_free_sgpr 16
		.amdhsa_reserve_vcc 1
		.amdhsa_float_round_mode_32 0
		.amdhsa_float_round_mode_16_64 0
		.amdhsa_float_denorm_mode_32 3
		.amdhsa_float_denorm_mode_16_64 3
		.amdhsa_dx10_clamp 1
		.amdhsa_ieee_mode 1
		.amdhsa_fp16_overflow 0
		.amdhsa_workgroup_processor_mode 1
		.amdhsa_memory_ordered 1
		.amdhsa_forward_progress 0
		.amdhsa_shared_vgpr_count 0
		.amdhsa_exception_fp_ieee_invalid_op 0
		.amdhsa_exception_fp_denorm_src 0
		.amdhsa_exception_fp_ieee_div_zero 0
		.amdhsa_exception_fp_ieee_overflow 0
		.amdhsa_exception_fp_ieee_underflow 0
		.amdhsa_exception_fp_ieee_inexact 0
		.amdhsa_exception_int_div_zero 0
	.end_amdhsa_kernel
	.section	.text._ZN9rocsparseL23sddmm_ell_sample_kernelILi16ELi32EDF16_lDF16_EEvT2_S1_PKT3_lS1_PS2_PKS1_21rocsparse_index_base_,"axG",@progbits,_ZN9rocsparseL23sddmm_ell_sample_kernelILi16ELi32EDF16_lDF16_EEvT2_S1_PKT3_lS1_PS2_PKS1_21rocsparse_index_base_,comdat
.Lfunc_end30:
	.size	_ZN9rocsparseL23sddmm_ell_sample_kernelILi16ELi32EDF16_lDF16_EEvT2_S1_PKT3_lS1_PS2_PKS1_21rocsparse_index_base_, .Lfunc_end30-_ZN9rocsparseL23sddmm_ell_sample_kernelILi16ELi32EDF16_lDF16_EEvT2_S1_PKT3_lS1_PS2_PKS1_21rocsparse_index_base_
                                        ; -- End function
	.section	.AMDGPU.csdata,"",@progbits
; Kernel info:
; codeLenInByte = 440
; NumSgprs: 18
; NumVgprs: 12
; ScratchSize: 0
; MemoryBound: 0
; FloatMode: 240
; IeeeMode: 1
; LDSByteSize: 0 bytes/workgroup (compile time only)
; SGPRBlocks: 2
; VGPRBlocks: 1
; NumSGPRsForWavesPerEU: 18
; NumVGPRsForWavesPerEU: 12
; Occupancy: 16
; WaveLimiterHint : 1
; COMPUTE_PGM_RSRC2:SCRATCH_EN: 0
; COMPUTE_PGM_RSRC2:USER_SGPR: 15
; COMPUTE_PGM_RSRC2:TRAP_HANDLER: 0
; COMPUTE_PGM_RSRC2:TGID_X_EN: 1
; COMPUTE_PGM_RSRC2:TGID_Y_EN: 0
; COMPUTE_PGM_RSRC2:TGID_Z_EN: 0
; COMPUTE_PGM_RSRC2:TIDIG_COMP_CNT: 0
	.section	.text._ZN9rocsparseL23sddmm_ell_sample_kernelILi16ELi64EDF16_lDF16_EEvT2_S1_PKT3_lS1_PS2_PKS1_21rocsparse_index_base_,"axG",@progbits,_ZN9rocsparseL23sddmm_ell_sample_kernelILi16ELi64EDF16_lDF16_EEvT2_S1_PKT3_lS1_PS2_PKS1_21rocsparse_index_base_,comdat
	.globl	_ZN9rocsparseL23sddmm_ell_sample_kernelILi16ELi64EDF16_lDF16_EEvT2_S1_PKT3_lS1_PS2_PKS1_21rocsparse_index_base_ ; -- Begin function _ZN9rocsparseL23sddmm_ell_sample_kernelILi16ELi64EDF16_lDF16_EEvT2_S1_PKT3_lS1_PS2_PKS1_21rocsparse_index_base_
	.p2align	8
	.type	_ZN9rocsparseL23sddmm_ell_sample_kernelILi16ELi64EDF16_lDF16_EEvT2_S1_PKT3_lS1_PS2_PKS1_21rocsparse_index_base_,@function
_ZN9rocsparseL23sddmm_ell_sample_kernelILi16ELi64EDF16_lDF16_EEvT2_S1_PKT3_lS1_PS2_PKS1_21rocsparse_index_base_: ; @_ZN9rocsparseL23sddmm_ell_sample_kernelILi16ELi64EDF16_lDF16_EEvT2_S1_PKT3_lS1_PS2_PKS1_21rocsparse_index_base_
; %bb.0:
	s_load_b128 s[8:11], s[0:1], 0x18
	v_lshrrev_b32_e32 v2, 6, v0
	v_mov_b32_e32 v1, 0
	s_mov_b32 s2, exec_lo
	s_delay_alu instid0(VALU_DEP_2) | instskip(NEXT) | instid1(VALU_DEP_2)
	v_lshl_or_b32 v2, s15, 4, v2
	v_mov_b32_e32 v3, v1
	s_waitcnt lgkmcnt(0)
	s_delay_alu instid0(VALU_DEP_1)
	v_cmpx_gt_i64_e64 s[10:11], v[2:3]
	s_cbranch_execz .LBB31_6
; %bb.1:
	s_load_b128 s[4:7], s[0:1], 0x0
	v_and_b32_e32 v0, 63, v0
	s_waitcnt lgkmcnt(0)
	s_delay_alu instid0(VALU_DEP_1)
	v_cmp_gt_i64_e32 vcc_lo, s[4:5], v[0:1]
	s_and_b32 exec_lo, exec_lo, vcc_lo
	s_cbranch_execz .LBB31_6
; %bb.2:
	v_mad_u64_u32 v[3:4], null, v2, s4, v[0:1]
	s_clause 0x2
	s_load_b128 s[12:15], s[0:1], 0x28
	s_load_b64 s[2:3], s[0:1], 0x10
	s_load_b32 s1, s[0:1], 0x38
	s_mov_b32 s10, 0
	v_lshlrev_b32_e32 v9, 1, v0
	s_delay_alu instid0(VALU_DEP_2) | instskip(NEXT) | instid1(VALU_DEP_1)
	v_mad_u64_u32 v[5:6], null, v2, s5, v[4:5]
	v_mov_b32_e32 v4, v5
	s_delay_alu instid0(VALU_DEP_1) | instskip(SKIP_2) | instid1(VALU_DEP_2)
	v_lshlrev_b64 v[5:6], 3, v[3:4]
	v_lshlrev_b64 v[7:8], 1, v[3:4]
	s_waitcnt lgkmcnt(0)
	v_add_co_u32 v2, vcc_lo, s14, v5
	s_delay_alu instid0(VALU_DEP_3) | instskip(NEXT) | instid1(VALU_DEP_3)
	v_add_co_ci_u32_e32 v3, vcc_lo, s15, v6, vcc_lo
	v_add_co_u32 v4, vcc_lo, s12, v7
	v_add_co_u32 v6, s0, s2, v9
	v_add_co_ci_u32_e32 v5, vcc_lo, s13, v8, vcc_lo
	v_add_co_ci_u32_e64 v7, null, s3, 0, s0
	s_lshl_b64 s[2:3], s[8:9], 1
	s_set_inst_prefetch_distance 0x1
	s_branch .LBB31_4
	.p2align	6
.LBB31_3:                               ;   in Loop: Header=BB31_4 Depth=1
	s_or_b32 exec_lo, exec_lo, s0
	v_add_co_u32 v0, vcc_lo, v0, 64
	v_add_co_ci_u32_e32 v1, vcc_lo, 0, v1, vcc_lo
	v_add_co_u32 v2, vcc_lo, 0x200, v2
	v_add_co_ci_u32_e32 v3, vcc_lo, 0, v3, vcc_lo
	;; [unrolled: 2-line block ×3, first 2 shown]
	v_cmp_le_i64_e32 vcc_lo, s[4:5], v[0:1]
	v_add_co_u32 v6, s0, 0x80, v6
	s_delay_alu instid0(VALU_DEP_1) | instskip(SKIP_1) | instid1(SALU_CYCLE_1)
	v_add_co_ci_u32_e64 v7, s0, 0, v7, s0
	s_or_b32 s10, vcc_lo, s10
	s_and_not1_b32 exec_lo, exec_lo, s10
	s_cbranch_execz .LBB31_6
.LBB31_4:                               ; =>This Inner Loop Header: Depth=1
	global_load_b64 v[8:9], v[2:3], off
	s_waitcnt vmcnt(0)
	v_sub_co_u32 v8, vcc_lo, v8, s1
	v_subrev_co_ci_u32_e32 v9, vcc_lo, 0, v9, vcc_lo
	s_delay_alu instid0(VALU_DEP_1) | instskip(SKIP_1) | instid1(VALU_DEP_1)
	v_cmp_lt_i64_e32 vcc_lo, -1, v[8:9]
	v_cmp_gt_i64_e64 s0, s[6:7], v[8:9]
	s_and_b32 s8, vcc_lo, s0
	s_delay_alu instid0(SALU_CYCLE_1)
	s_and_saveexec_b32 s0, s8
	s_cbranch_execz .LBB31_3
; %bb.5:                                ;   in Loop: Header=BB31_4 Depth=1
	v_mad_u64_u32 v[10:11], null, s2, v8, v[6:7]
	v_mul_lo_u32 v9, s2, v9
	v_mul_lo_u32 v8, s3, v8
	s_delay_alu instid0(VALU_DEP_1)
	v_add3_u32 v11, v8, v11, v9
	global_load_u16 v8, v[10:11], off
	s_waitcnt vmcnt(0)
	global_store_b16 v[4:5], v8, off
	s_branch .LBB31_3
.LBB31_6:
	s_set_inst_prefetch_distance 0x2
	s_nop 0
	s_sendmsg sendmsg(MSG_DEALLOC_VGPRS)
	s_endpgm
	.section	.rodata,"a",@progbits
	.p2align	6, 0x0
	.amdhsa_kernel _ZN9rocsparseL23sddmm_ell_sample_kernelILi16ELi64EDF16_lDF16_EEvT2_S1_PKT3_lS1_PS2_PKS1_21rocsparse_index_base_
		.amdhsa_group_segment_fixed_size 0
		.amdhsa_private_segment_fixed_size 0
		.amdhsa_kernarg_size 60
		.amdhsa_user_sgpr_count 15
		.amdhsa_user_sgpr_dispatch_ptr 0
		.amdhsa_user_sgpr_queue_ptr 0
		.amdhsa_user_sgpr_kernarg_segment_ptr 1
		.amdhsa_user_sgpr_dispatch_id 0
		.amdhsa_user_sgpr_private_segment_size 0
		.amdhsa_wavefront_size32 1
		.amdhsa_uses_dynamic_stack 0
		.amdhsa_enable_private_segment 0
		.amdhsa_system_sgpr_workgroup_id_x 1
		.amdhsa_system_sgpr_workgroup_id_y 0
		.amdhsa_system_sgpr_workgroup_id_z 0
		.amdhsa_system_sgpr_workgroup_info 0
		.amdhsa_system_vgpr_workitem_id 0
		.amdhsa_next_free_vgpr 12
		.amdhsa_next_free_sgpr 16
		.amdhsa_reserve_vcc 1
		.amdhsa_float_round_mode_32 0
		.amdhsa_float_round_mode_16_64 0
		.amdhsa_float_denorm_mode_32 3
		.amdhsa_float_denorm_mode_16_64 3
		.amdhsa_dx10_clamp 1
		.amdhsa_ieee_mode 1
		.amdhsa_fp16_overflow 0
		.amdhsa_workgroup_processor_mode 1
		.amdhsa_memory_ordered 1
		.amdhsa_forward_progress 0
		.amdhsa_shared_vgpr_count 0
		.amdhsa_exception_fp_ieee_invalid_op 0
		.amdhsa_exception_fp_denorm_src 0
		.amdhsa_exception_fp_ieee_div_zero 0
		.amdhsa_exception_fp_ieee_overflow 0
		.amdhsa_exception_fp_ieee_underflow 0
		.amdhsa_exception_fp_ieee_inexact 0
		.amdhsa_exception_int_div_zero 0
	.end_amdhsa_kernel
	.section	.text._ZN9rocsparseL23sddmm_ell_sample_kernelILi16ELi64EDF16_lDF16_EEvT2_S1_PKT3_lS1_PS2_PKS1_21rocsparse_index_base_,"axG",@progbits,_ZN9rocsparseL23sddmm_ell_sample_kernelILi16ELi64EDF16_lDF16_EEvT2_S1_PKT3_lS1_PS2_PKS1_21rocsparse_index_base_,comdat
.Lfunc_end31:
	.size	_ZN9rocsparseL23sddmm_ell_sample_kernelILi16ELi64EDF16_lDF16_EEvT2_S1_PKT3_lS1_PS2_PKS1_21rocsparse_index_base_, .Lfunc_end31-_ZN9rocsparseL23sddmm_ell_sample_kernelILi16ELi64EDF16_lDF16_EEvT2_S1_PKT3_lS1_PS2_PKS1_21rocsparse_index_base_
                                        ; -- End function
	.section	.AMDGPU.csdata,"",@progbits
; Kernel info:
; codeLenInByte = 448
; NumSgprs: 18
; NumVgprs: 12
; ScratchSize: 0
; MemoryBound: 0
; FloatMode: 240
; IeeeMode: 1
; LDSByteSize: 0 bytes/workgroup (compile time only)
; SGPRBlocks: 2
; VGPRBlocks: 1
; NumSGPRsForWavesPerEU: 18
; NumVGPRsForWavesPerEU: 12
; Occupancy: 16
; WaveLimiterHint : 1
; COMPUTE_PGM_RSRC2:SCRATCH_EN: 0
; COMPUTE_PGM_RSRC2:USER_SGPR: 15
; COMPUTE_PGM_RSRC2:TRAP_HANDLER: 0
; COMPUTE_PGM_RSRC2:TGID_X_EN: 1
; COMPUTE_PGM_RSRC2:TGID_Y_EN: 0
; COMPUTE_PGM_RSRC2:TGID_Z_EN: 0
; COMPUTE_PGM_RSRC2:TIDIG_COMP_CNT: 0
	.section	.text._ZN9rocsparseL16sddmm_ell_kernelILi512ELi8EDF16_llDF16_DF16_DF16_EEv20rocsparse_operation_S1_16rocsparse_order_S2_T3_S3_S3_T2_NS_24const_host_device_scalarIT1_EEPKT4_lPKT5_lS7_PT6_PKS3_21rocsparse_index_base_b,"axG",@progbits,_ZN9rocsparseL16sddmm_ell_kernelILi512ELi8EDF16_llDF16_DF16_DF16_EEv20rocsparse_operation_S1_16rocsparse_order_S2_T3_S3_S3_T2_NS_24const_host_device_scalarIT1_EEPKT4_lPKT5_lS7_PT6_PKS3_21rocsparse_index_base_b,comdat
	.globl	_ZN9rocsparseL16sddmm_ell_kernelILi512ELi8EDF16_llDF16_DF16_DF16_EEv20rocsparse_operation_S1_16rocsparse_order_S2_T3_S3_S3_T2_NS_24const_host_device_scalarIT1_EEPKT4_lPKT5_lS7_PT6_PKS3_21rocsparse_index_base_b ; -- Begin function _ZN9rocsparseL16sddmm_ell_kernelILi512ELi8EDF16_llDF16_DF16_DF16_EEv20rocsparse_operation_S1_16rocsparse_order_S2_T3_S3_S3_T2_NS_24const_host_device_scalarIT1_EEPKT4_lPKT5_lS7_PT6_PKS3_21rocsparse_index_base_b
	.p2align	8
	.type	_ZN9rocsparseL16sddmm_ell_kernelILi512ELi8EDF16_llDF16_DF16_DF16_EEv20rocsparse_operation_S1_16rocsparse_order_S2_T3_S3_S3_T2_NS_24const_host_device_scalarIT1_EEPKT4_lPKT5_lS7_PT6_PKS3_21rocsparse_index_base_b,@function
_ZN9rocsparseL16sddmm_ell_kernelILi512ELi8EDF16_llDF16_DF16_DF16_EEv20rocsparse_operation_S1_16rocsparse_order_S2_T3_S3_S3_T2_NS_24const_host_device_scalarIT1_EEPKT4_lPKT5_lS7_PT6_PKS3_21rocsparse_index_base_b: ; @_ZN9rocsparseL16sddmm_ell_kernelILi512ELi8EDF16_llDF16_DF16_DF16_EEv20rocsparse_operation_S1_16rocsparse_order_S2_T3_S3_S3_T2_NS_24const_host_device_scalarIT1_EEPKT4_lPKT5_lS7_PT6_PKS3_21rocsparse_index_base_b
; %bb.0:
	s_clause 0x2
	s_load_b64 s[12:13], s[0:1], 0x70
	s_load_b64 s[2:3], s[0:1], 0x30
	s_load_b128 s[8:11], s[0:1], 0x50
	s_waitcnt lgkmcnt(0)
	s_bitcmp1_b32 s13, 0
	v_mov_b32_e32 v11, s2
	s_cselect_b32 s4, -1, 0
	s_delay_alu instid0(SALU_CYCLE_1)
	s_and_b32 vcc_lo, exec_lo, s4
	s_xor_b32 s4, s4, -1
	s_cbranch_vccnz .LBB32_2
; %bb.1:
	v_mov_b32_e32 v1, 0
	global_load_u16 v11, v1, s[2:3]
.LBB32_2:
	v_mov_b32_e32 v12, s10
	s_and_not1_b32 vcc_lo, exec_lo, s4
	s_cbranch_vccnz .LBB32_4
; %bb.3:
	v_mov_b32_e32 v1, 0
	global_load_u16 v12, v1, s[10:11]
.LBB32_4:
	s_waitcnt vmcnt(0)
	v_cmp_eq_f16_e32 vcc_lo, 0, v11
	v_cmp_eq_f16_e64 s2, 1.0, v12
	s_delay_alu instid0(VALU_DEP_1) | instskip(NEXT) | instid1(SALU_CYCLE_1)
	s_and_b32 s2, vcc_lo, s2
	s_and_b32 vcc_lo, exec_lo, s2
	s_cbranch_vccnz .LBB32_39
; %bb.5:
	s_load_b128 s[4:7], s[0:1], 0x20
	v_lshrrev_b32_e32 v13, 3, v0
	v_mov_b32_e32 v2, 0
	s_mov_b32 s2, exec_lo
	s_delay_alu instid0(VALU_DEP_2) | instskip(SKIP_1) | instid1(VALU_DEP_1)
	v_lshl_or_b32 v1, s15, 6, v13
	s_waitcnt lgkmcnt(0)
	v_cmpx_gt_i64_e64 s[6:7], v[1:2]
	s_cbranch_execz .LBB32_39
; %bb.6:
	s_clause 0x1
	s_load_b64 s[10:11], s[0:1], 0x10
	s_load_b64 s[6:7], s[0:1], 0x68
	s_mov_b32 s2, 0
                                        ; implicit-def: $vgpr7_vgpr8
	s_waitcnt lgkmcnt(0)
	s_mov_b32 s3, s11
	s_delay_alu instid0(SALU_CYCLE_1) | instskip(SKIP_1) | instid1(SALU_CYCLE_1)
	s_cmp_lg_u64 s[2:3], 0
	s_cselect_b32 s2, -1, 0
	s_and_saveexec_b32 s3, s2
	s_delay_alu instid0(SALU_CYCLE_1)
	s_xor_b32 s3, exec_lo, s3
	s_cbranch_execz .LBB32_8
; %bb.7:
	s_ashr_i32 s14, s11, 31
	s_delay_alu instid0(SALU_CYCLE_1) | instskip(SKIP_2) | instid1(SALU_CYCLE_1)
	s_add_u32 s16, s10, s14
	s_mov_b32 s15, s14
	s_addc_u32 s17, s11, s14
	s_xor_b64 s[14:15], s[16:17], s[14:15]
	s_delay_alu instid0(SALU_CYCLE_1) | instskip(SKIP_3) | instid1(VALU_DEP_1)
	v_cvt_f32_u32_e32 v3, s14
	v_cvt_f32_u32_e32 v4, s15
	s_sub_u32 s2, 0, s14
	s_subb_u32 s11, 0, s15
	v_fmamk_f32 v3, v4, 0x4f800000, v3
	s_delay_alu instid0(VALU_DEP_1) | instskip(SKIP_2) | instid1(VALU_DEP_1)
	v_rcp_f32_e32 v3, v3
	s_waitcnt_depctr 0xfff
	v_mul_f32_e32 v3, 0x5f7ffffc, v3
	v_mul_f32_e32 v4, 0x2f800000, v3
	s_delay_alu instid0(VALU_DEP_1) | instskip(NEXT) | instid1(VALU_DEP_1)
	v_trunc_f32_e32 v4, v4
	v_fmamk_f32 v3, v4, 0xcf800000, v3
	v_cvt_u32_f32_e32 v4, v4
	s_delay_alu instid0(VALU_DEP_2) | instskip(NEXT) | instid1(VALU_DEP_2)
	v_cvt_u32_f32_e32 v3, v3
	v_mul_lo_u32 v5, s2, v4
	s_delay_alu instid0(VALU_DEP_2) | instskip(SKIP_1) | instid1(VALU_DEP_2)
	v_mul_hi_u32 v6, s2, v3
	v_mul_lo_u32 v7, s11, v3
	v_add_nc_u32_e32 v5, v6, v5
	v_mul_lo_u32 v6, s2, v3
	s_delay_alu instid0(VALU_DEP_2) | instskip(NEXT) | instid1(VALU_DEP_2)
	v_add_nc_u32_e32 v5, v5, v7
	v_mul_hi_u32 v7, v3, v6
	s_delay_alu instid0(VALU_DEP_2)
	v_mul_lo_u32 v8, v3, v5
	v_mul_hi_u32 v9, v3, v5
	v_mul_hi_u32 v10, v4, v6
	v_mul_lo_u32 v6, v4, v6
	v_mul_hi_u32 v14, v4, v5
	v_mul_lo_u32 v5, v4, v5
	v_add_co_u32 v7, vcc_lo, v7, v8
	v_add_co_ci_u32_e32 v8, vcc_lo, 0, v9, vcc_lo
	s_delay_alu instid0(VALU_DEP_2) | instskip(NEXT) | instid1(VALU_DEP_2)
	v_add_co_u32 v6, vcc_lo, v7, v6
	v_add_co_ci_u32_e32 v6, vcc_lo, v8, v10, vcc_lo
	v_add_co_ci_u32_e32 v7, vcc_lo, 0, v14, vcc_lo
	s_delay_alu instid0(VALU_DEP_2) | instskip(NEXT) | instid1(VALU_DEP_2)
	v_add_co_u32 v5, vcc_lo, v6, v5
	v_add_co_ci_u32_e32 v6, vcc_lo, 0, v7, vcc_lo
	s_delay_alu instid0(VALU_DEP_2) | instskip(NEXT) | instid1(VALU_DEP_2)
	v_add_co_u32 v3, vcc_lo, v3, v5
	v_add_co_ci_u32_e32 v4, vcc_lo, v4, v6, vcc_lo
	s_delay_alu instid0(VALU_DEP_2) | instskip(SKIP_1) | instid1(VALU_DEP_3)
	v_mul_hi_u32 v5, s2, v3
	v_mul_lo_u32 v7, s11, v3
	v_mul_lo_u32 v6, s2, v4
	s_delay_alu instid0(VALU_DEP_1) | instskip(SKIP_1) | instid1(VALU_DEP_2)
	v_add_nc_u32_e32 v5, v5, v6
	v_mul_lo_u32 v6, s2, v3
	v_add_nc_u32_e32 v5, v5, v7
	s_delay_alu instid0(VALU_DEP_2) | instskip(NEXT) | instid1(VALU_DEP_2)
	v_mul_hi_u32 v7, v3, v6
	v_mul_lo_u32 v8, v3, v5
	v_mul_hi_u32 v9, v3, v5
	v_mul_hi_u32 v10, v4, v6
	v_mul_lo_u32 v6, v4, v6
	v_mul_hi_u32 v14, v4, v5
	v_mul_lo_u32 v5, v4, v5
	v_add_co_u32 v7, vcc_lo, v7, v8
	v_add_co_ci_u32_e32 v8, vcc_lo, 0, v9, vcc_lo
	s_delay_alu instid0(VALU_DEP_2) | instskip(NEXT) | instid1(VALU_DEP_2)
	v_add_co_u32 v6, vcc_lo, v7, v6
	v_add_co_ci_u32_e32 v6, vcc_lo, v8, v10, vcc_lo
	v_add_co_ci_u32_e32 v7, vcc_lo, 0, v14, vcc_lo
	s_delay_alu instid0(VALU_DEP_2) | instskip(NEXT) | instid1(VALU_DEP_2)
	v_add_co_u32 v5, vcc_lo, v6, v5
	v_add_co_ci_u32_e32 v6, vcc_lo, 0, v7, vcc_lo
	s_delay_alu instid0(VALU_DEP_2) | instskip(NEXT) | instid1(VALU_DEP_2)
	v_add_co_u32 v7, vcc_lo, v3, v5
	v_add_co_ci_u32_e32 v9, vcc_lo, v4, v6, vcc_lo
	s_delay_alu instid0(VALU_DEP_2) | instskip(SKIP_1) | instid1(VALU_DEP_3)
	v_mul_hi_u32 v10, v1, v7
	v_mad_u64_u32 v[5:6], null, 0, v7, 0
	v_mad_u64_u32 v[3:4], null, v1, v9, 0
	;; [unrolled: 1-line block ×3, first 2 shown]
	s_delay_alu instid0(VALU_DEP_2) | instskip(NEXT) | instid1(VALU_DEP_3)
	v_add_co_u32 v3, vcc_lo, v10, v3
	v_add_co_ci_u32_e32 v4, vcc_lo, 0, v4, vcc_lo
	s_delay_alu instid0(VALU_DEP_2) | instskip(NEXT) | instid1(VALU_DEP_2)
	v_add_co_u32 v3, vcc_lo, v3, v5
	v_add_co_ci_u32_e32 v3, vcc_lo, v4, v6, vcc_lo
	v_add_co_ci_u32_e32 v4, vcc_lo, 0, v8, vcc_lo
	s_delay_alu instid0(VALU_DEP_2) | instskip(NEXT) | instid1(VALU_DEP_2)
	v_add_co_u32 v5, vcc_lo, v3, v7
	v_add_co_ci_u32_e32 v6, vcc_lo, 0, v4, vcc_lo
	s_delay_alu instid0(VALU_DEP_2) | instskip(SKIP_1) | instid1(VALU_DEP_3)
	v_mul_lo_u32 v7, s15, v5
	v_mad_u64_u32 v[3:4], null, s14, v5, 0
	v_mul_lo_u32 v5, s14, v6
	s_delay_alu instid0(VALU_DEP_2) | instskip(NEXT) | instid1(VALU_DEP_2)
	v_sub_co_u32 v3, vcc_lo, v1, v3
	v_add3_u32 v4, v4, v5, v7
	s_delay_alu instid0(VALU_DEP_1) | instskip(NEXT) | instid1(VALU_DEP_1)
	v_sub_nc_u32_e32 v5, 0, v4
	v_subrev_co_ci_u32_e64 v5, s2, s15, v5, vcc_lo
	v_sub_co_ci_u32_e32 v4, vcc_lo, 0, v4, vcc_lo
	v_sub_co_u32 v6, vcc_lo, v3, s14
	s_delay_alu instid0(VALU_DEP_1) | instskip(SKIP_3) | instid1(VALU_DEP_3)
	v_subrev_co_ci_u32_e64 v7, s2, 0, v5, vcc_lo
	v_cmp_le_u32_e64 s2, s14, v3
	v_subrev_co_ci_u32_e32 v5, vcc_lo, s15, v5, vcc_lo
	v_cmp_le_u32_e32 vcc_lo, s15, v4
	v_cndmask_b32_e64 v8, 0, -1, s2
	v_cmp_le_u32_e64 s2, s14, v6
	v_cndmask_b32_e64 v14, 0, -1, vcc_lo
	v_cmp_eq_u32_e32 vcc_lo, s15, v7
	s_delay_alu instid0(VALU_DEP_3) | instskip(SKIP_1) | instid1(VALU_DEP_1)
	v_cndmask_b32_e64 v9, 0, -1, s2
	v_cmp_le_u32_e64 s2, s15, v7
	v_cndmask_b32_e64 v10, 0, -1, s2
	v_cmp_eq_u32_e64 s2, s15, v4
	s_delay_alu instid0(VALU_DEP_2) | instskip(SKIP_2) | instid1(VALU_DEP_3)
	v_cndmask_b32_e32 v9, v10, v9, vcc_lo
	v_sub_co_u32 v10, vcc_lo, v6, s14
	v_subrev_co_ci_u32_e32 v5, vcc_lo, 0, v5, vcc_lo
	v_cmp_ne_u32_e32 vcc_lo, 0, v9
	v_cndmask_b32_e64 v8, v14, v8, s2
	s_delay_alu instid0(VALU_DEP_3) | instskip(NEXT) | instid1(VALU_DEP_2)
	v_dual_cndmask_b32 v5, v7, v5 :: v_dual_cndmask_b32 v6, v6, v10
	v_cmp_ne_u32_e32 vcc_lo, 0, v8
	s_delay_alu instid0(VALU_DEP_2) | instskip(NEXT) | instid1(VALU_DEP_1)
	v_dual_cndmask_b32 v3, v3, v6 :: v_dual_cndmask_b32 v4, v4, v5
	v_sub_co_u32 v7, vcc_lo, v3, 0
	s_delay_alu instid0(VALU_DEP_2)
	v_subrev_co_ci_u32_e32 v8, vcc_lo, 0, v4, vcc_lo
.LBB32_8:
	s_and_not1_saveexec_b32 s2, s3
	s_cbranch_execz .LBB32_10
; %bb.9:
	v_cvt_f32_u32_e32 v3, s10
	s_sub_i32 s3, 0, s10
	v_mov_b32_e32 v8, 0
	s_delay_alu instid0(VALU_DEP_2) | instskip(SKIP_2) | instid1(VALU_DEP_1)
	v_rcp_iflag_f32_e32 v3, v3
	s_waitcnt_depctr 0xfff
	v_mul_f32_e32 v3, 0x4f7ffffe, v3
	v_cvt_u32_f32_e32 v3, v3
	s_delay_alu instid0(VALU_DEP_1) | instskip(NEXT) | instid1(VALU_DEP_1)
	v_mul_lo_u32 v4, s3, v3
	v_mul_hi_u32 v4, v3, v4
	s_delay_alu instid0(VALU_DEP_1) | instskip(NEXT) | instid1(VALU_DEP_1)
	v_add_nc_u32_e32 v3, v3, v4
	v_mul_hi_u32 v3, v1, v3
	s_delay_alu instid0(VALU_DEP_1) | instskip(NEXT) | instid1(VALU_DEP_1)
	v_mul_lo_u32 v3, v3, s10
	v_sub_nc_u32_e32 v3, v1, v3
	s_delay_alu instid0(VALU_DEP_1) | instskip(SKIP_1) | instid1(VALU_DEP_2)
	v_subrev_nc_u32_e32 v4, s10, v3
	v_cmp_le_u32_e32 vcc_lo, s10, v3
	v_cndmask_b32_e32 v3, v3, v4, vcc_lo
	s_delay_alu instid0(VALU_DEP_1) | instskip(SKIP_1) | instid1(VALU_DEP_2)
	v_subrev_nc_u32_e32 v4, s10, v3
	v_cmp_le_u32_e32 vcc_lo, s10, v3
	v_cndmask_b32_e32 v7, v3, v4, vcc_lo
.LBB32_10:
	s_or_b32 exec_lo, exec_lo, s2
	v_lshlrev_b64 v[3:4], 3, v[1:2]
	s_delay_alu instid0(VALU_DEP_1) | instskip(NEXT) | instid1(VALU_DEP_2)
	v_add_co_u32 v3, vcc_lo, s6, v3
	v_add_co_ci_u32_e32 v4, vcc_lo, s7, v4, vcc_lo
	global_load_b64 v[3:4], v[3:4], off
	s_waitcnt vmcnt(0)
	v_sub_co_u32 v3, vcc_lo, v3, s12
	v_subrev_co_ci_u32_e32 v4, vcc_lo, 0, v4, vcc_lo
	s_delay_alu instid0(VALU_DEP_1)
	v_cmp_lt_i64_e32 vcc_lo, -1, v[3:4]
	s_and_b32 exec_lo, exec_lo, vcc_lo
	s_cbranch_execz .LBB32_39
; %bb.11:
	s_clause 0x1
	s_load_b128 s[12:15], s[0:1], 0x0
	s_load_b64 s[6:7], s[0:1], 0x40
	s_waitcnt lgkmcnt(0)
	s_cmp_eq_u32 s14, 1
	s_cselect_b32 s10, -1, 0
	s_cmpk_eq_i32 s12, 0x6f
	s_cselect_b32 s11, -1, 0
	s_cmpk_lg_i32 s12, 0x6f
	s_cselect_b32 s2, -1, 0
	s_cmp_lg_u32 s14, 1
	s_cbranch_scc0 .LBB32_15
; %bb.12:
	v_dual_mov_b32 v5, v7 :: v_dual_mov_b32 v6, v8
	s_and_not1_b32 vcc_lo, exec_lo, s11
	s_cbranch_vccnz .LBB32_14
; %bb.13:
	v_mul_lo_u32 v9, v8, s6
	v_mul_lo_u32 v10, v7, s7
	v_mad_u64_u32 v[5:6], null, v7, s6, 0
	s_delay_alu instid0(VALU_DEP_1)
	v_add3_u32 v6, v6, v10, v9
.LBB32_14:
	s_cbranch_execz .LBB32_16
	s_branch .LBB32_19
.LBB32_15:
                                        ; implicit-def: $vgpr5_vgpr6
.LBB32_16:
	s_and_not1_b32 vcc_lo, exec_lo, s2
	s_cbranch_vccnz .LBB32_18
; %bb.17:
	v_mul_lo_u32 v8, v8, s6
	v_mul_lo_u32 v9, v7, s7
	v_mad_u64_u32 v[5:6], null, v7, s6, 0
	s_delay_alu instid0(VALU_DEP_1) | instskip(NEXT) | instid1(VALU_DEP_1)
	v_add3_u32 v6, v6, v9, v8
	v_dual_mov_b32 v8, v6 :: v_dual_mov_b32 v7, v5
.LBB32_18:
	s_delay_alu instid0(VALU_DEP_1)
	v_dual_mov_b32 v5, v7 :: v_dual_mov_b32 v6, v8
.LBB32_19:
	s_cmp_eq_u32 s15, 1
	s_cselect_b32 s14, -1, 0
	s_cmpk_eq_i32 s13, 0x6f
	s_cselect_b32 s16, -1, 0
	s_cmpk_lg_i32 s13, 0x6f
	s_cselect_b32 s2, -1, 0
	s_cmp_lg_u32 s15, 1
	s_cbranch_scc0 .LBB32_23
; %bb.20:
	v_dual_mov_b32 v8, v4 :: v_dual_mov_b32 v7, v3
	s_and_not1_b32 vcc_lo, exec_lo, s2
	s_cbranch_vccnz .LBB32_22
; %bb.21:
	v_mul_lo_u32 v9, v4, s8
	v_mul_lo_u32 v10, v3, s9
	v_mad_u64_u32 v[7:8], null, v3, s8, 0
	s_delay_alu instid0(VALU_DEP_1)
	v_add3_u32 v8, v8, v10, v9
.LBB32_22:
	s_cbranch_execz .LBB32_24
	s_branch .LBB32_27
.LBB32_23:
                                        ; implicit-def: $vgpr7_vgpr8
.LBB32_24:
	s_and_not1_b32 vcc_lo, exec_lo, s16
	s_cbranch_vccnz .LBB32_26
; %bb.25:
	v_mul_lo_u32 v4, v4, s8
	v_mul_lo_u32 v9, v3, s9
	v_mad_u64_u32 v[7:8], null, v3, s8, 0
	s_delay_alu instid0(VALU_DEP_1) | instskip(NEXT) | instid1(VALU_DEP_1)
	v_add3_u32 v8, v8, v9, v4
	v_dual_mov_b32 v3, v7 :: v_dual_mov_b32 v4, v8
.LBB32_26:
	s_delay_alu instid0(VALU_DEP_1)
	v_dual_mov_b32 v8, v4 :: v_dual_mov_b32 v7, v3
.LBB32_27:
	s_load_b64 s[2:3], s[0:1], 0x60
	v_dual_mov_b32 v4, 0 :: v_dual_and_b32 v3, 7, v0
	s_mov_b32 s12, exec_lo
	s_delay_alu instid0(VALU_DEP_1)
	v_cmpx_gt_i64_e64 s[4:5], v[3:4]
	s_cbranch_execz .LBB32_31
; %bb.28:
	s_xor_b32 s10, s11, s10
	v_lshlrev_b64 v[7:8], 1, v[7:8]
	s_and_b32 s10, s10, exec_lo
	s_cselect_b32 s11, 0, s7
	s_cselect_b32 s10, 1, s6
	s_xor_b32 s6, s16, s14
	v_mad_u64_u32 v[9:10], null, s10, v3, 0
	s_and_b32 s6, s6, exec_lo
	s_cselect_b32 s6, s8, 1
	s_cselect_b32 s7, s9, 0
	v_mad_u64_u32 v[14:15], null, s6, v3, 0
	s_load_b64 s[8:9], s[0:1], 0x38
	s_delay_alu instid0(VALU_DEP_2) | instskip(SKIP_1) | instid1(VALU_DEP_2)
	v_mov_b32_e32 v0, v10
	s_load_b64 s[0:1], s[0:1], 0x48
	v_mov_b32_e32 v10, v15
	s_delay_alu instid0(VALU_DEP_2) | instskip(SKIP_1) | instid1(VALU_DEP_3)
	v_mad_u64_u32 v[15:16], null, s11, v3, v[0:1]
	v_mov_b32_e32 v0, 0
	v_mad_u64_u32 v[16:17], null, s7, v3, v[10:11]
	v_lshlrev_b64 v[17:18], 1, v[5:6]
	v_dual_mov_b32 v6, v4 :: v_dual_mov_b32 v5, v3
	v_mov_b32_e32 v10, v15
	s_lshl_b64 s[6:7], s[6:7], 4
	s_delay_alu instid0(VALU_DEP_4) | instskip(NEXT) | instid1(VALU_DEP_2)
	v_mov_b32_e32 v15, v16
	v_lshlrev_b64 v[9:10], 1, v[9:10]
	s_delay_alu instid0(VALU_DEP_2) | instskip(NEXT) | instid1(VALU_DEP_2)
	v_lshlrev_b64 v[14:15], 1, v[14:15]
	v_add_co_u32 v4, vcc_lo, v9, v17
	s_delay_alu instid0(VALU_DEP_3) | instskip(NEXT) | instid1(VALU_DEP_3)
	v_add_co_ci_u32_e32 v9, vcc_lo, v10, v18, vcc_lo
	v_add_co_u32 v10, vcc_lo, v14, v7
	s_delay_alu instid0(VALU_DEP_4)
	v_add_co_ci_u32_e32 v14, vcc_lo, v15, v8, vcc_lo
	s_waitcnt lgkmcnt(0)
	v_add_co_u32 v7, vcc_lo, s8, v4
	v_add_co_ci_u32_e32 v8, vcc_lo, s9, v9, vcc_lo
	v_add_co_u32 v9, vcc_lo, s0, v10
	v_add_co_ci_u32_e32 v10, vcc_lo, s1, v14, vcc_lo
	v_mov_b32_e32 v4, v0
	s_mov_b32 s1, 0
	s_lshl_b64 s[8:9], s[10:11], 4
	.p2align	6
.LBB32_29:                              ; =>This Inner Loop Header: Depth=1
	global_load_u16 v0, v[7:8], off
	global_load_u16 v14, v[9:10], off
	v_add_co_u32 v5, vcc_lo, v5, 8
	v_add_co_ci_u32_e32 v6, vcc_lo, 0, v6, vcc_lo
	v_add_co_u32 v9, vcc_lo, v9, s6
	v_add_co_ci_u32_e32 v10, vcc_lo, s7, v10, vcc_lo
	s_delay_alu instid0(VALU_DEP_3) | instskip(SKIP_1) | instid1(VALU_DEP_1)
	v_cmp_le_i64_e32 vcc_lo, s[4:5], v[5:6]
	v_add_co_u32 v7, s0, v7, s8
	v_add_co_ci_u32_e64 v8, s0, s9, v8, s0
	s_or_b32 s1, vcc_lo, s1
	s_waitcnt vmcnt(0)
	v_fmac_f16_e32 v4, v0, v14
	s_and_not1_b32 exec_lo, exec_lo, s1
	s_cbranch_execnz .LBB32_29
; %bb.30:
	s_or_b32 exec_lo, exec_lo, s1
.LBB32_31:
	s_delay_alu instid0(SALU_CYCLE_1) | instskip(SKIP_2) | instid1(VALU_DEP_1)
	s_or_b32 exec_lo, exec_lo, s12
	v_lshlrev_b32_e32 v0, 1, v3
	s_mov_b32 s0, exec_lo
	v_lshl_or_b32 v0, v13, 4, v0
	ds_store_b16 v0, v4
	s_waitcnt lgkmcnt(0)
	s_barrier
	buffer_gl0_inv
	v_cmpx_gt_u32_e32 4, v3
	s_cbranch_execz .LBB32_33
; %bb.32:
	ds_load_u16 v4, v0
	ds_load_u16 v5, v0 offset:8
	s_waitcnt lgkmcnt(0)
	v_add_f16_e32 v4, v5, v4
	ds_store_b16 v0, v4
.LBB32_33:
	s_or_b32 exec_lo, exec_lo, s0
	s_delay_alu instid0(SALU_CYCLE_1)
	s_mov_b32 s0, exec_lo
	s_waitcnt lgkmcnt(0)
	s_barrier
	buffer_gl0_inv
	v_cmpx_gt_u32_e32 2, v3
	s_cbranch_execz .LBB32_35
; %bb.34:
	ds_load_u16 v4, v0
	ds_load_u16 v5, v0 offset:4
	s_waitcnt lgkmcnt(0)
	v_add_f16_e32 v4, v5, v4
	ds_store_b16 v0, v4
.LBB32_35:
	s_or_b32 exec_lo, exec_lo, s0
	v_cmp_eq_u32_e32 vcc_lo, 0, v3
	v_lshlrev_b32_e32 v3, 4, v13
	s_waitcnt lgkmcnt(0)
	s_barrier
	buffer_gl0_inv
	s_and_saveexec_b32 s0, vcc_lo
	s_cbranch_execz .LBB32_37
; %bb.36:
	ds_load_u16 v4, v3 offset:2
	ds_load_u16 v5, v0
	s_waitcnt lgkmcnt(0)
	v_add_f16_e32 v4, v4, v5
	ds_store_b16 v0, v4
.LBB32_37:
	s_or_b32 exec_lo, exec_lo, s0
	s_waitcnt lgkmcnt(0)
	s_barrier
	buffer_gl0_inv
	s_and_b32 exec_lo, exec_lo, vcc_lo
	s_cbranch_execz .LBB32_39
; %bb.38:
	v_lshlrev_b64 v[0:1], 1, v[1:2]
	ds_load_u16 v3, v3
	v_add_co_u32 v0, vcc_lo, s2, v0
	v_add_co_ci_u32_e32 v1, vcc_lo, s3, v1, vcc_lo
	global_load_u16 v2, v[0:1], off
	s_waitcnt lgkmcnt(0)
	v_mul_f16_e32 v3, v11, v3
	s_waitcnt vmcnt(0)
	s_delay_alu instid0(VALU_DEP_1)
	v_fmac_f16_e32 v3, v12, v2
	global_store_b16 v[0:1], v3, off
.LBB32_39:
	s_nop 0
	s_sendmsg sendmsg(MSG_DEALLOC_VGPRS)
	s_endpgm
	.section	.rodata,"a",@progbits
	.p2align	6, 0x0
	.amdhsa_kernel _ZN9rocsparseL16sddmm_ell_kernelILi512ELi8EDF16_llDF16_DF16_DF16_EEv20rocsparse_operation_S1_16rocsparse_order_S2_T3_S3_S3_T2_NS_24const_host_device_scalarIT1_EEPKT4_lPKT5_lS7_PT6_PKS3_21rocsparse_index_base_b
		.amdhsa_group_segment_fixed_size 1024
		.amdhsa_private_segment_fixed_size 0
		.amdhsa_kernarg_size 120
		.amdhsa_user_sgpr_count 15
		.amdhsa_user_sgpr_dispatch_ptr 0
		.amdhsa_user_sgpr_queue_ptr 0
		.amdhsa_user_sgpr_kernarg_segment_ptr 1
		.amdhsa_user_sgpr_dispatch_id 0
		.amdhsa_user_sgpr_private_segment_size 0
		.amdhsa_wavefront_size32 1
		.amdhsa_uses_dynamic_stack 0
		.amdhsa_enable_private_segment 0
		.amdhsa_system_sgpr_workgroup_id_x 1
		.amdhsa_system_sgpr_workgroup_id_y 0
		.amdhsa_system_sgpr_workgroup_id_z 0
		.amdhsa_system_sgpr_workgroup_info 0
		.amdhsa_system_vgpr_workitem_id 0
		.amdhsa_next_free_vgpr 19
		.amdhsa_next_free_sgpr 18
		.amdhsa_reserve_vcc 1
		.amdhsa_float_round_mode_32 0
		.amdhsa_float_round_mode_16_64 0
		.amdhsa_float_denorm_mode_32 3
		.amdhsa_float_denorm_mode_16_64 3
		.amdhsa_dx10_clamp 1
		.amdhsa_ieee_mode 1
		.amdhsa_fp16_overflow 0
		.amdhsa_workgroup_processor_mode 1
		.amdhsa_memory_ordered 1
		.amdhsa_forward_progress 0
		.amdhsa_shared_vgpr_count 0
		.amdhsa_exception_fp_ieee_invalid_op 0
		.amdhsa_exception_fp_denorm_src 0
		.amdhsa_exception_fp_ieee_div_zero 0
		.amdhsa_exception_fp_ieee_overflow 0
		.amdhsa_exception_fp_ieee_underflow 0
		.amdhsa_exception_fp_ieee_inexact 0
		.amdhsa_exception_int_div_zero 0
	.end_amdhsa_kernel
	.section	.text._ZN9rocsparseL16sddmm_ell_kernelILi512ELi8EDF16_llDF16_DF16_DF16_EEv20rocsparse_operation_S1_16rocsparse_order_S2_T3_S3_S3_T2_NS_24const_host_device_scalarIT1_EEPKT4_lPKT5_lS7_PT6_PKS3_21rocsparse_index_base_b,"axG",@progbits,_ZN9rocsparseL16sddmm_ell_kernelILi512ELi8EDF16_llDF16_DF16_DF16_EEv20rocsparse_operation_S1_16rocsparse_order_S2_T3_S3_S3_T2_NS_24const_host_device_scalarIT1_EEPKT4_lPKT5_lS7_PT6_PKS3_21rocsparse_index_base_b,comdat
.Lfunc_end32:
	.size	_ZN9rocsparseL16sddmm_ell_kernelILi512ELi8EDF16_llDF16_DF16_DF16_EEv20rocsparse_operation_S1_16rocsparse_order_S2_T3_S3_S3_T2_NS_24const_host_device_scalarIT1_EEPKT4_lPKT5_lS7_PT6_PKS3_21rocsparse_index_base_b, .Lfunc_end32-_ZN9rocsparseL16sddmm_ell_kernelILi512ELi8EDF16_llDF16_DF16_DF16_EEv20rocsparse_operation_S1_16rocsparse_order_S2_T3_S3_S3_T2_NS_24const_host_device_scalarIT1_EEPKT4_lPKT5_lS7_PT6_PKS3_21rocsparse_index_base_b
                                        ; -- End function
	.section	.AMDGPU.csdata,"",@progbits
; Kernel info:
; codeLenInByte = 2236
; NumSgprs: 20
; NumVgprs: 19
; ScratchSize: 0
; MemoryBound: 0
; FloatMode: 240
; IeeeMode: 1
; LDSByteSize: 1024 bytes/workgroup (compile time only)
; SGPRBlocks: 2
; VGPRBlocks: 2
; NumSGPRsForWavesPerEU: 20
; NumVGPRsForWavesPerEU: 19
; Occupancy: 16
; WaveLimiterHint : 0
; COMPUTE_PGM_RSRC2:SCRATCH_EN: 0
; COMPUTE_PGM_RSRC2:USER_SGPR: 15
; COMPUTE_PGM_RSRC2:TRAP_HANDLER: 0
; COMPUTE_PGM_RSRC2:TGID_X_EN: 1
; COMPUTE_PGM_RSRC2:TGID_Y_EN: 0
; COMPUTE_PGM_RSRC2:TGID_Z_EN: 0
; COMPUTE_PGM_RSRC2:TIDIG_COMP_CNT: 0
	.section	.text._ZN9rocsparseL16sddmm_ell_kernelILi512ELi4EDF16_llDF16_DF16_DF16_EEv20rocsparse_operation_S1_16rocsparse_order_S2_T3_S3_S3_T2_NS_24const_host_device_scalarIT1_EEPKT4_lPKT5_lS7_PT6_PKS3_21rocsparse_index_base_b,"axG",@progbits,_ZN9rocsparseL16sddmm_ell_kernelILi512ELi4EDF16_llDF16_DF16_DF16_EEv20rocsparse_operation_S1_16rocsparse_order_S2_T3_S3_S3_T2_NS_24const_host_device_scalarIT1_EEPKT4_lPKT5_lS7_PT6_PKS3_21rocsparse_index_base_b,comdat
	.globl	_ZN9rocsparseL16sddmm_ell_kernelILi512ELi4EDF16_llDF16_DF16_DF16_EEv20rocsparse_operation_S1_16rocsparse_order_S2_T3_S3_S3_T2_NS_24const_host_device_scalarIT1_EEPKT4_lPKT5_lS7_PT6_PKS3_21rocsparse_index_base_b ; -- Begin function _ZN9rocsparseL16sddmm_ell_kernelILi512ELi4EDF16_llDF16_DF16_DF16_EEv20rocsparse_operation_S1_16rocsparse_order_S2_T3_S3_S3_T2_NS_24const_host_device_scalarIT1_EEPKT4_lPKT5_lS7_PT6_PKS3_21rocsparse_index_base_b
	.p2align	8
	.type	_ZN9rocsparseL16sddmm_ell_kernelILi512ELi4EDF16_llDF16_DF16_DF16_EEv20rocsparse_operation_S1_16rocsparse_order_S2_T3_S3_S3_T2_NS_24const_host_device_scalarIT1_EEPKT4_lPKT5_lS7_PT6_PKS3_21rocsparse_index_base_b,@function
_ZN9rocsparseL16sddmm_ell_kernelILi512ELi4EDF16_llDF16_DF16_DF16_EEv20rocsparse_operation_S1_16rocsparse_order_S2_T3_S3_S3_T2_NS_24const_host_device_scalarIT1_EEPKT4_lPKT5_lS7_PT6_PKS3_21rocsparse_index_base_b: ; @_ZN9rocsparseL16sddmm_ell_kernelILi512ELi4EDF16_llDF16_DF16_DF16_EEv20rocsparse_operation_S1_16rocsparse_order_S2_T3_S3_S3_T2_NS_24const_host_device_scalarIT1_EEPKT4_lPKT5_lS7_PT6_PKS3_21rocsparse_index_base_b
; %bb.0:
	s_clause 0x2
	s_load_b64 s[12:13], s[0:1], 0x70
	s_load_b64 s[2:3], s[0:1], 0x30
	s_load_b128 s[8:11], s[0:1], 0x50
	s_waitcnt lgkmcnt(0)
	s_bitcmp1_b32 s13, 0
	v_mov_b32_e32 v11, s2
	s_cselect_b32 s4, -1, 0
	s_delay_alu instid0(SALU_CYCLE_1)
	s_and_b32 vcc_lo, exec_lo, s4
	s_xor_b32 s4, s4, -1
	s_cbranch_vccnz .LBB33_2
; %bb.1:
	v_mov_b32_e32 v1, 0
	global_load_u16 v11, v1, s[2:3]
.LBB33_2:
	v_mov_b32_e32 v12, s10
	s_and_not1_b32 vcc_lo, exec_lo, s4
	s_cbranch_vccnz .LBB33_4
; %bb.3:
	v_mov_b32_e32 v1, 0
	global_load_u16 v12, v1, s[10:11]
.LBB33_4:
	s_waitcnt vmcnt(0)
	v_cmp_eq_f16_e32 vcc_lo, 0, v11
	v_cmp_eq_f16_e64 s2, 1.0, v12
	s_delay_alu instid0(VALU_DEP_1) | instskip(NEXT) | instid1(SALU_CYCLE_1)
	s_and_b32 s2, vcc_lo, s2
	s_and_b32 vcc_lo, exec_lo, s2
	s_cbranch_vccnz .LBB33_37
; %bb.5:
	s_load_b128 s[4:7], s[0:1], 0x20
	v_lshrrev_b32_e32 v13, 2, v0
	v_mov_b32_e32 v2, 0
	s_mov_b32 s2, exec_lo
	s_delay_alu instid0(VALU_DEP_2) | instskip(SKIP_1) | instid1(VALU_DEP_1)
	v_lshl_or_b32 v1, s15, 7, v13
	s_waitcnt lgkmcnt(0)
	v_cmpx_gt_i64_e64 s[6:7], v[1:2]
	s_cbranch_execz .LBB33_37
; %bb.6:
	s_clause 0x1
	s_load_b64 s[10:11], s[0:1], 0x10
	s_load_b64 s[6:7], s[0:1], 0x68
	s_mov_b32 s2, 0
                                        ; implicit-def: $vgpr7_vgpr8
	s_waitcnt lgkmcnt(0)
	s_mov_b32 s3, s11
	s_delay_alu instid0(SALU_CYCLE_1) | instskip(SKIP_1) | instid1(SALU_CYCLE_1)
	s_cmp_lg_u64 s[2:3], 0
	s_cselect_b32 s2, -1, 0
	s_and_saveexec_b32 s3, s2
	s_delay_alu instid0(SALU_CYCLE_1)
	s_xor_b32 s3, exec_lo, s3
	s_cbranch_execz .LBB33_8
; %bb.7:
	s_ashr_i32 s14, s11, 31
	s_delay_alu instid0(SALU_CYCLE_1) | instskip(SKIP_2) | instid1(SALU_CYCLE_1)
	s_add_u32 s16, s10, s14
	s_mov_b32 s15, s14
	s_addc_u32 s17, s11, s14
	s_xor_b64 s[14:15], s[16:17], s[14:15]
	s_delay_alu instid0(SALU_CYCLE_1) | instskip(SKIP_3) | instid1(VALU_DEP_1)
	v_cvt_f32_u32_e32 v3, s14
	v_cvt_f32_u32_e32 v4, s15
	s_sub_u32 s2, 0, s14
	s_subb_u32 s11, 0, s15
	v_fmamk_f32 v3, v4, 0x4f800000, v3
	s_delay_alu instid0(VALU_DEP_1) | instskip(SKIP_2) | instid1(VALU_DEP_1)
	v_rcp_f32_e32 v3, v3
	s_waitcnt_depctr 0xfff
	v_mul_f32_e32 v3, 0x5f7ffffc, v3
	v_mul_f32_e32 v4, 0x2f800000, v3
	s_delay_alu instid0(VALU_DEP_1) | instskip(NEXT) | instid1(VALU_DEP_1)
	v_trunc_f32_e32 v4, v4
	v_fmamk_f32 v3, v4, 0xcf800000, v3
	v_cvt_u32_f32_e32 v4, v4
	s_delay_alu instid0(VALU_DEP_2) | instskip(NEXT) | instid1(VALU_DEP_2)
	v_cvt_u32_f32_e32 v3, v3
	v_mul_lo_u32 v5, s2, v4
	s_delay_alu instid0(VALU_DEP_2) | instskip(SKIP_1) | instid1(VALU_DEP_2)
	v_mul_hi_u32 v6, s2, v3
	v_mul_lo_u32 v7, s11, v3
	v_add_nc_u32_e32 v5, v6, v5
	v_mul_lo_u32 v6, s2, v3
	s_delay_alu instid0(VALU_DEP_2) | instskip(NEXT) | instid1(VALU_DEP_2)
	v_add_nc_u32_e32 v5, v5, v7
	v_mul_hi_u32 v7, v3, v6
	s_delay_alu instid0(VALU_DEP_2)
	v_mul_lo_u32 v8, v3, v5
	v_mul_hi_u32 v9, v3, v5
	v_mul_hi_u32 v10, v4, v6
	v_mul_lo_u32 v6, v4, v6
	v_mul_hi_u32 v14, v4, v5
	v_mul_lo_u32 v5, v4, v5
	v_add_co_u32 v7, vcc_lo, v7, v8
	v_add_co_ci_u32_e32 v8, vcc_lo, 0, v9, vcc_lo
	s_delay_alu instid0(VALU_DEP_2) | instskip(NEXT) | instid1(VALU_DEP_2)
	v_add_co_u32 v6, vcc_lo, v7, v6
	v_add_co_ci_u32_e32 v6, vcc_lo, v8, v10, vcc_lo
	v_add_co_ci_u32_e32 v7, vcc_lo, 0, v14, vcc_lo
	s_delay_alu instid0(VALU_DEP_2) | instskip(NEXT) | instid1(VALU_DEP_2)
	v_add_co_u32 v5, vcc_lo, v6, v5
	v_add_co_ci_u32_e32 v6, vcc_lo, 0, v7, vcc_lo
	s_delay_alu instid0(VALU_DEP_2) | instskip(NEXT) | instid1(VALU_DEP_2)
	v_add_co_u32 v3, vcc_lo, v3, v5
	v_add_co_ci_u32_e32 v4, vcc_lo, v4, v6, vcc_lo
	s_delay_alu instid0(VALU_DEP_2) | instskip(SKIP_1) | instid1(VALU_DEP_3)
	v_mul_hi_u32 v5, s2, v3
	v_mul_lo_u32 v7, s11, v3
	v_mul_lo_u32 v6, s2, v4
	s_delay_alu instid0(VALU_DEP_1) | instskip(SKIP_1) | instid1(VALU_DEP_2)
	v_add_nc_u32_e32 v5, v5, v6
	v_mul_lo_u32 v6, s2, v3
	v_add_nc_u32_e32 v5, v5, v7
	s_delay_alu instid0(VALU_DEP_2) | instskip(NEXT) | instid1(VALU_DEP_2)
	v_mul_hi_u32 v7, v3, v6
	v_mul_lo_u32 v8, v3, v5
	v_mul_hi_u32 v9, v3, v5
	v_mul_hi_u32 v10, v4, v6
	v_mul_lo_u32 v6, v4, v6
	v_mul_hi_u32 v14, v4, v5
	v_mul_lo_u32 v5, v4, v5
	v_add_co_u32 v7, vcc_lo, v7, v8
	v_add_co_ci_u32_e32 v8, vcc_lo, 0, v9, vcc_lo
	s_delay_alu instid0(VALU_DEP_2) | instskip(NEXT) | instid1(VALU_DEP_2)
	v_add_co_u32 v6, vcc_lo, v7, v6
	v_add_co_ci_u32_e32 v6, vcc_lo, v8, v10, vcc_lo
	v_add_co_ci_u32_e32 v7, vcc_lo, 0, v14, vcc_lo
	s_delay_alu instid0(VALU_DEP_2) | instskip(NEXT) | instid1(VALU_DEP_2)
	v_add_co_u32 v5, vcc_lo, v6, v5
	v_add_co_ci_u32_e32 v6, vcc_lo, 0, v7, vcc_lo
	s_delay_alu instid0(VALU_DEP_2) | instskip(NEXT) | instid1(VALU_DEP_2)
	v_add_co_u32 v7, vcc_lo, v3, v5
	v_add_co_ci_u32_e32 v9, vcc_lo, v4, v6, vcc_lo
	s_delay_alu instid0(VALU_DEP_2) | instskip(SKIP_1) | instid1(VALU_DEP_3)
	v_mul_hi_u32 v10, v1, v7
	v_mad_u64_u32 v[5:6], null, 0, v7, 0
	v_mad_u64_u32 v[3:4], null, v1, v9, 0
	;; [unrolled: 1-line block ×3, first 2 shown]
	s_delay_alu instid0(VALU_DEP_2) | instskip(NEXT) | instid1(VALU_DEP_3)
	v_add_co_u32 v3, vcc_lo, v10, v3
	v_add_co_ci_u32_e32 v4, vcc_lo, 0, v4, vcc_lo
	s_delay_alu instid0(VALU_DEP_2) | instskip(NEXT) | instid1(VALU_DEP_2)
	v_add_co_u32 v3, vcc_lo, v3, v5
	v_add_co_ci_u32_e32 v3, vcc_lo, v4, v6, vcc_lo
	v_add_co_ci_u32_e32 v4, vcc_lo, 0, v8, vcc_lo
	s_delay_alu instid0(VALU_DEP_2) | instskip(NEXT) | instid1(VALU_DEP_2)
	v_add_co_u32 v5, vcc_lo, v3, v7
	v_add_co_ci_u32_e32 v6, vcc_lo, 0, v4, vcc_lo
	s_delay_alu instid0(VALU_DEP_2) | instskip(SKIP_1) | instid1(VALU_DEP_3)
	v_mul_lo_u32 v7, s15, v5
	v_mad_u64_u32 v[3:4], null, s14, v5, 0
	v_mul_lo_u32 v5, s14, v6
	s_delay_alu instid0(VALU_DEP_2) | instskip(NEXT) | instid1(VALU_DEP_2)
	v_sub_co_u32 v3, vcc_lo, v1, v3
	v_add3_u32 v4, v4, v5, v7
	s_delay_alu instid0(VALU_DEP_1) | instskip(NEXT) | instid1(VALU_DEP_1)
	v_sub_nc_u32_e32 v5, 0, v4
	v_subrev_co_ci_u32_e64 v5, s2, s15, v5, vcc_lo
	v_sub_co_ci_u32_e32 v4, vcc_lo, 0, v4, vcc_lo
	v_sub_co_u32 v6, vcc_lo, v3, s14
	s_delay_alu instid0(VALU_DEP_1) | instskip(SKIP_3) | instid1(VALU_DEP_3)
	v_subrev_co_ci_u32_e64 v7, s2, 0, v5, vcc_lo
	v_cmp_le_u32_e64 s2, s14, v3
	v_subrev_co_ci_u32_e32 v5, vcc_lo, s15, v5, vcc_lo
	v_cmp_le_u32_e32 vcc_lo, s15, v4
	v_cndmask_b32_e64 v8, 0, -1, s2
	v_cmp_le_u32_e64 s2, s14, v6
	v_cndmask_b32_e64 v14, 0, -1, vcc_lo
	v_cmp_eq_u32_e32 vcc_lo, s15, v7
	s_delay_alu instid0(VALU_DEP_3) | instskip(SKIP_1) | instid1(VALU_DEP_1)
	v_cndmask_b32_e64 v9, 0, -1, s2
	v_cmp_le_u32_e64 s2, s15, v7
	v_cndmask_b32_e64 v10, 0, -1, s2
	v_cmp_eq_u32_e64 s2, s15, v4
	s_delay_alu instid0(VALU_DEP_2) | instskip(SKIP_2) | instid1(VALU_DEP_3)
	v_cndmask_b32_e32 v9, v10, v9, vcc_lo
	v_sub_co_u32 v10, vcc_lo, v6, s14
	v_subrev_co_ci_u32_e32 v5, vcc_lo, 0, v5, vcc_lo
	v_cmp_ne_u32_e32 vcc_lo, 0, v9
	v_cndmask_b32_e64 v8, v14, v8, s2
	s_delay_alu instid0(VALU_DEP_3) | instskip(NEXT) | instid1(VALU_DEP_2)
	v_dual_cndmask_b32 v5, v7, v5 :: v_dual_cndmask_b32 v6, v6, v10
	v_cmp_ne_u32_e32 vcc_lo, 0, v8
	s_delay_alu instid0(VALU_DEP_2) | instskip(NEXT) | instid1(VALU_DEP_1)
	v_dual_cndmask_b32 v3, v3, v6 :: v_dual_cndmask_b32 v4, v4, v5
	v_sub_co_u32 v7, vcc_lo, v3, 0
	s_delay_alu instid0(VALU_DEP_2)
	v_subrev_co_ci_u32_e32 v8, vcc_lo, 0, v4, vcc_lo
.LBB33_8:
	s_and_not1_saveexec_b32 s2, s3
	s_cbranch_execz .LBB33_10
; %bb.9:
	v_cvt_f32_u32_e32 v3, s10
	s_sub_i32 s3, 0, s10
	v_mov_b32_e32 v8, 0
	s_delay_alu instid0(VALU_DEP_2) | instskip(SKIP_2) | instid1(VALU_DEP_1)
	v_rcp_iflag_f32_e32 v3, v3
	s_waitcnt_depctr 0xfff
	v_mul_f32_e32 v3, 0x4f7ffffe, v3
	v_cvt_u32_f32_e32 v3, v3
	s_delay_alu instid0(VALU_DEP_1) | instskip(NEXT) | instid1(VALU_DEP_1)
	v_mul_lo_u32 v4, s3, v3
	v_mul_hi_u32 v4, v3, v4
	s_delay_alu instid0(VALU_DEP_1) | instskip(NEXT) | instid1(VALU_DEP_1)
	v_add_nc_u32_e32 v3, v3, v4
	v_mul_hi_u32 v3, v1, v3
	s_delay_alu instid0(VALU_DEP_1) | instskip(NEXT) | instid1(VALU_DEP_1)
	v_mul_lo_u32 v3, v3, s10
	v_sub_nc_u32_e32 v3, v1, v3
	s_delay_alu instid0(VALU_DEP_1) | instskip(SKIP_1) | instid1(VALU_DEP_2)
	v_subrev_nc_u32_e32 v4, s10, v3
	v_cmp_le_u32_e32 vcc_lo, s10, v3
	v_cndmask_b32_e32 v3, v3, v4, vcc_lo
	s_delay_alu instid0(VALU_DEP_1) | instskip(SKIP_1) | instid1(VALU_DEP_2)
	v_subrev_nc_u32_e32 v4, s10, v3
	v_cmp_le_u32_e32 vcc_lo, s10, v3
	v_cndmask_b32_e32 v7, v3, v4, vcc_lo
.LBB33_10:
	s_or_b32 exec_lo, exec_lo, s2
	v_lshlrev_b64 v[3:4], 3, v[1:2]
	s_delay_alu instid0(VALU_DEP_1) | instskip(NEXT) | instid1(VALU_DEP_2)
	v_add_co_u32 v3, vcc_lo, s6, v3
	v_add_co_ci_u32_e32 v4, vcc_lo, s7, v4, vcc_lo
	global_load_b64 v[3:4], v[3:4], off
	s_waitcnt vmcnt(0)
	v_sub_co_u32 v3, vcc_lo, v3, s12
	v_subrev_co_ci_u32_e32 v4, vcc_lo, 0, v4, vcc_lo
	s_delay_alu instid0(VALU_DEP_1)
	v_cmp_lt_i64_e32 vcc_lo, -1, v[3:4]
	s_and_b32 exec_lo, exec_lo, vcc_lo
	s_cbranch_execz .LBB33_37
; %bb.11:
	s_clause 0x1
	s_load_b128 s[12:15], s[0:1], 0x0
	s_load_b64 s[6:7], s[0:1], 0x40
	s_waitcnt lgkmcnt(0)
	s_cmp_eq_u32 s14, 1
	s_cselect_b32 s10, -1, 0
	s_cmpk_eq_i32 s12, 0x6f
	s_cselect_b32 s11, -1, 0
	s_cmpk_lg_i32 s12, 0x6f
	s_cselect_b32 s2, -1, 0
	s_cmp_lg_u32 s14, 1
	s_cbranch_scc0 .LBB33_15
; %bb.12:
	v_dual_mov_b32 v5, v7 :: v_dual_mov_b32 v6, v8
	s_and_not1_b32 vcc_lo, exec_lo, s11
	s_cbranch_vccnz .LBB33_14
; %bb.13:
	v_mul_lo_u32 v9, v8, s6
	v_mul_lo_u32 v10, v7, s7
	v_mad_u64_u32 v[5:6], null, v7, s6, 0
	s_delay_alu instid0(VALU_DEP_1)
	v_add3_u32 v6, v6, v10, v9
.LBB33_14:
	s_cbranch_execz .LBB33_16
	s_branch .LBB33_19
.LBB33_15:
                                        ; implicit-def: $vgpr5_vgpr6
.LBB33_16:
	s_and_not1_b32 vcc_lo, exec_lo, s2
	s_cbranch_vccnz .LBB33_18
; %bb.17:
	v_mul_lo_u32 v8, v8, s6
	v_mul_lo_u32 v9, v7, s7
	v_mad_u64_u32 v[5:6], null, v7, s6, 0
	s_delay_alu instid0(VALU_DEP_1) | instskip(NEXT) | instid1(VALU_DEP_1)
	v_add3_u32 v6, v6, v9, v8
	v_dual_mov_b32 v8, v6 :: v_dual_mov_b32 v7, v5
.LBB33_18:
	s_delay_alu instid0(VALU_DEP_1)
	v_dual_mov_b32 v5, v7 :: v_dual_mov_b32 v6, v8
.LBB33_19:
	s_cmp_eq_u32 s15, 1
	s_cselect_b32 s14, -1, 0
	s_cmpk_eq_i32 s13, 0x6f
	s_cselect_b32 s16, -1, 0
	s_cmpk_lg_i32 s13, 0x6f
	s_cselect_b32 s2, -1, 0
	s_cmp_lg_u32 s15, 1
	s_cbranch_scc0 .LBB33_23
; %bb.20:
	v_dual_mov_b32 v8, v4 :: v_dual_mov_b32 v7, v3
	s_and_not1_b32 vcc_lo, exec_lo, s2
	s_cbranch_vccnz .LBB33_22
; %bb.21:
	v_mul_lo_u32 v9, v4, s8
	v_mul_lo_u32 v10, v3, s9
	v_mad_u64_u32 v[7:8], null, v3, s8, 0
	s_delay_alu instid0(VALU_DEP_1)
	v_add3_u32 v8, v8, v10, v9
.LBB33_22:
	s_cbranch_execz .LBB33_24
	s_branch .LBB33_27
.LBB33_23:
                                        ; implicit-def: $vgpr7_vgpr8
.LBB33_24:
	s_and_not1_b32 vcc_lo, exec_lo, s16
	s_cbranch_vccnz .LBB33_26
; %bb.25:
	v_mul_lo_u32 v4, v4, s8
	v_mul_lo_u32 v9, v3, s9
	v_mad_u64_u32 v[7:8], null, v3, s8, 0
	s_delay_alu instid0(VALU_DEP_1) | instskip(NEXT) | instid1(VALU_DEP_1)
	v_add3_u32 v8, v8, v9, v4
	v_dual_mov_b32 v3, v7 :: v_dual_mov_b32 v4, v8
.LBB33_26:
	s_delay_alu instid0(VALU_DEP_1)
	v_dual_mov_b32 v8, v4 :: v_dual_mov_b32 v7, v3
.LBB33_27:
	s_load_b64 s[2:3], s[0:1], 0x60
	v_dual_mov_b32 v4, 0 :: v_dual_and_b32 v3, 3, v0
	s_mov_b32 s12, exec_lo
	s_delay_alu instid0(VALU_DEP_1)
	v_cmpx_gt_i64_e64 s[4:5], v[3:4]
	s_cbranch_execz .LBB33_31
; %bb.28:
	s_xor_b32 s10, s11, s10
	v_lshlrev_b64 v[7:8], 1, v[7:8]
	s_and_b32 s10, s10, exec_lo
	s_cselect_b32 s11, 0, s7
	s_cselect_b32 s10, 1, s6
	s_xor_b32 s6, s16, s14
	v_mad_u64_u32 v[9:10], null, s10, v3, 0
	s_and_b32 s6, s6, exec_lo
	s_cselect_b32 s6, s8, 1
	s_cselect_b32 s7, s9, 0
	v_mad_u64_u32 v[14:15], null, s6, v3, 0
	s_load_b64 s[8:9], s[0:1], 0x38
	s_delay_alu instid0(VALU_DEP_2) | instskip(SKIP_1) | instid1(VALU_DEP_2)
	v_mov_b32_e32 v0, v10
	s_load_b64 s[0:1], s[0:1], 0x48
	v_mov_b32_e32 v10, v15
	s_delay_alu instid0(VALU_DEP_2) | instskip(SKIP_1) | instid1(VALU_DEP_3)
	v_mad_u64_u32 v[15:16], null, s11, v3, v[0:1]
	v_mov_b32_e32 v0, 0
	v_mad_u64_u32 v[16:17], null, s7, v3, v[10:11]
	v_lshlrev_b64 v[17:18], 1, v[5:6]
	v_dual_mov_b32 v6, v4 :: v_dual_mov_b32 v5, v3
	v_mov_b32_e32 v10, v15
	s_lshl_b64 s[6:7], s[6:7], 3
	s_delay_alu instid0(VALU_DEP_4) | instskip(NEXT) | instid1(VALU_DEP_2)
	v_mov_b32_e32 v15, v16
	v_lshlrev_b64 v[9:10], 1, v[9:10]
	s_delay_alu instid0(VALU_DEP_2) | instskip(NEXT) | instid1(VALU_DEP_2)
	v_lshlrev_b64 v[14:15], 1, v[14:15]
	v_add_co_u32 v4, vcc_lo, v9, v17
	s_delay_alu instid0(VALU_DEP_3) | instskip(NEXT) | instid1(VALU_DEP_3)
	v_add_co_ci_u32_e32 v9, vcc_lo, v10, v18, vcc_lo
	v_add_co_u32 v10, vcc_lo, v14, v7
	s_delay_alu instid0(VALU_DEP_4)
	v_add_co_ci_u32_e32 v14, vcc_lo, v15, v8, vcc_lo
	s_waitcnt lgkmcnt(0)
	v_add_co_u32 v7, vcc_lo, s8, v4
	v_add_co_ci_u32_e32 v8, vcc_lo, s9, v9, vcc_lo
	v_add_co_u32 v9, vcc_lo, s0, v10
	v_add_co_ci_u32_e32 v10, vcc_lo, s1, v14, vcc_lo
	v_mov_b32_e32 v4, v0
	s_mov_b32 s1, 0
	s_lshl_b64 s[8:9], s[10:11], 3
	.p2align	6
.LBB33_29:                              ; =>This Inner Loop Header: Depth=1
	global_load_u16 v0, v[7:8], off
	global_load_u16 v14, v[9:10], off
	v_add_co_u32 v5, vcc_lo, v5, 4
	v_add_co_ci_u32_e32 v6, vcc_lo, 0, v6, vcc_lo
	v_add_co_u32 v9, vcc_lo, v9, s6
	v_add_co_ci_u32_e32 v10, vcc_lo, s7, v10, vcc_lo
	s_delay_alu instid0(VALU_DEP_3) | instskip(SKIP_1) | instid1(VALU_DEP_1)
	v_cmp_le_i64_e32 vcc_lo, s[4:5], v[5:6]
	v_add_co_u32 v7, s0, v7, s8
	v_add_co_ci_u32_e64 v8, s0, s9, v8, s0
	s_or_b32 s1, vcc_lo, s1
	s_waitcnt vmcnt(0)
	v_fmac_f16_e32 v4, v0, v14
	s_and_not1_b32 exec_lo, exec_lo, s1
	s_cbranch_execnz .LBB33_29
; %bb.30:
	s_or_b32 exec_lo, exec_lo, s1
.LBB33_31:
	s_delay_alu instid0(SALU_CYCLE_1) | instskip(SKIP_2) | instid1(VALU_DEP_1)
	s_or_b32 exec_lo, exec_lo, s12
	v_lshlrev_b32_e32 v0, 1, v3
	s_mov_b32 s0, exec_lo
	v_lshl_or_b32 v0, v13, 3, v0
	ds_store_b16 v0, v4
	s_waitcnt lgkmcnt(0)
	s_barrier
	buffer_gl0_inv
	v_cmpx_gt_u32_e32 2, v3
	s_cbranch_execz .LBB33_33
; %bb.32:
	ds_load_u16 v4, v0
	ds_load_u16 v5, v0 offset:4
	s_waitcnt lgkmcnt(0)
	v_add_f16_e32 v4, v5, v4
	ds_store_b16 v0, v4
.LBB33_33:
	s_or_b32 exec_lo, exec_lo, s0
	v_cmp_eq_u32_e32 vcc_lo, 0, v3
	v_lshlrev_b32_e32 v3, 3, v13
	s_waitcnt lgkmcnt(0)
	s_barrier
	buffer_gl0_inv
	s_and_saveexec_b32 s0, vcc_lo
	s_cbranch_execz .LBB33_35
; %bb.34:
	ds_load_u16 v4, v3 offset:2
	ds_load_u16 v5, v0
	s_waitcnt lgkmcnt(0)
	v_add_f16_e32 v4, v4, v5
	ds_store_b16 v0, v4
.LBB33_35:
	s_or_b32 exec_lo, exec_lo, s0
	s_waitcnt lgkmcnt(0)
	s_barrier
	buffer_gl0_inv
	s_and_b32 exec_lo, exec_lo, vcc_lo
	s_cbranch_execz .LBB33_37
; %bb.36:
	v_lshlrev_b64 v[0:1], 1, v[1:2]
	ds_load_u16 v3, v3
	v_add_co_u32 v0, vcc_lo, s2, v0
	v_add_co_ci_u32_e32 v1, vcc_lo, s3, v1, vcc_lo
	global_load_u16 v2, v[0:1], off
	s_waitcnt lgkmcnt(0)
	v_mul_f16_e32 v3, v11, v3
	s_waitcnt vmcnt(0)
	s_delay_alu instid0(VALU_DEP_1)
	v_fmac_f16_e32 v3, v12, v2
	global_store_b16 v[0:1], v3, off
.LBB33_37:
	s_nop 0
	s_sendmsg sendmsg(MSG_DEALLOC_VGPRS)
	s_endpgm
	.section	.rodata,"a",@progbits
	.p2align	6, 0x0
	.amdhsa_kernel _ZN9rocsparseL16sddmm_ell_kernelILi512ELi4EDF16_llDF16_DF16_DF16_EEv20rocsparse_operation_S1_16rocsparse_order_S2_T3_S3_S3_T2_NS_24const_host_device_scalarIT1_EEPKT4_lPKT5_lS7_PT6_PKS3_21rocsparse_index_base_b
		.amdhsa_group_segment_fixed_size 1024
		.amdhsa_private_segment_fixed_size 0
		.amdhsa_kernarg_size 120
		.amdhsa_user_sgpr_count 15
		.amdhsa_user_sgpr_dispatch_ptr 0
		.amdhsa_user_sgpr_queue_ptr 0
		.amdhsa_user_sgpr_kernarg_segment_ptr 1
		.amdhsa_user_sgpr_dispatch_id 0
		.amdhsa_user_sgpr_private_segment_size 0
		.amdhsa_wavefront_size32 1
		.amdhsa_uses_dynamic_stack 0
		.amdhsa_enable_private_segment 0
		.amdhsa_system_sgpr_workgroup_id_x 1
		.amdhsa_system_sgpr_workgroup_id_y 0
		.amdhsa_system_sgpr_workgroup_id_z 0
		.amdhsa_system_sgpr_workgroup_info 0
		.amdhsa_system_vgpr_workitem_id 0
		.amdhsa_next_free_vgpr 19
		.amdhsa_next_free_sgpr 18
		.amdhsa_reserve_vcc 1
		.amdhsa_float_round_mode_32 0
		.amdhsa_float_round_mode_16_64 0
		.amdhsa_float_denorm_mode_32 3
		.amdhsa_float_denorm_mode_16_64 3
		.amdhsa_dx10_clamp 1
		.amdhsa_ieee_mode 1
		.amdhsa_fp16_overflow 0
		.amdhsa_workgroup_processor_mode 1
		.amdhsa_memory_ordered 1
		.amdhsa_forward_progress 0
		.amdhsa_shared_vgpr_count 0
		.amdhsa_exception_fp_ieee_invalid_op 0
		.amdhsa_exception_fp_denorm_src 0
		.amdhsa_exception_fp_ieee_div_zero 0
		.amdhsa_exception_fp_ieee_overflow 0
		.amdhsa_exception_fp_ieee_underflow 0
		.amdhsa_exception_fp_ieee_inexact 0
		.amdhsa_exception_int_div_zero 0
	.end_amdhsa_kernel
	.section	.text._ZN9rocsparseL16sddmm_ell_kernelILi512ELi4EDF16_llDF16_DF16_DF16_EEv20rocsparse_operation_S1_16rocsparse_order_S2_T3_S3_S3_T2_NS_24const_host_device_scalarIT1_EEPKT4_lPKT5_lS7_PT6_PKS3_21rocsparse_index_base_b,"axG",@progbits,_ZN9rocsparseL16sddmm_ell_kernelILi512ELi4EDF16_llDF16_DF16_DF16_EEv20rocsparse_operation_S1_16rocsparse_order_S2_T3_S3_S3_T2_NS_24const_host_device_scalarIT1_EEPKT4_lPKT5_lS7_PT6_PKS3_21rocsparse_index_base_b,comdat
.Lfunc_end33:
	.size	_ZN9rocsparseL16sddmm_ell_kernelILi512ELi4EDF16_llDF16_DF16_DF16_EEv20rocsparse_operation_S1_16rocsparse_order_S2_T3_S3_S3_T2_NS_24const_host_device_scalarIT1_EEPKT4_lPKT5_lS7_PT6_PKS3_21rocsparse_index_base_b, .Lfunc_end33-_ZN9rocsparseL16sddmm_ell_kernelILi512ELi4EDF16_llDF16_DF16_DF16_EEv20rocsparse_operation_S1_16rocsparse_order_S2_T3_S3_S3_T2_NS_24const_host_device_scalarIT1_EEPKT4_lPKT5_lS7_PT6_PKS3_21rocsparse_index_base_b
                                        ; -- End function
	.section	.AMDGPU.csdata,"",@progbits
; Kernel info:
; codeLenInByte = 2168
; NumSgprs: 20
; NumVgprs: 19
; ScratchSize: 0
; MemoryBound: 0
; FloatMode: 240
; IeeeMode: 1
; LDSByteSize: 1024 bytes/workgroup (compile time only)
; SGPRBlocks: 2
; VGPRBlocks: 2
; NumSGPRsForWavesPerEU: 20
; NumVGPRsForWavesPerEU: 19
; Occupancy: 16
; WaveLimiterHint : 0
; COMPUTE_PGM_RSRC2:SCRATCH_EN: 0
; COMPUTE_PGM_RSRC2:USER_SGPR: 15
; COMPUTE_PGM_RSRC2:TRAP_HANDLER: 0
; COMPUTE_PGM_RSRC2:TGID_X_EN: 1
; COMPUTE_PGM_RSRC2:TGID_Y_EN: 0
; COMPUTE_PGM_RSRC2:TGID_Z_EN: 0
; COMPUTE_PGM_RSRC2:TIDIG_COMP_CNT: 0
	.section	.text._ZN9rocsparseL16sddmm_ell_kernelILi512ELi2EDF16_llDF16_DF16_DF16_EEv20rocsparse_operation_S1_16rocsparse_order_S2_T3_S3_S3_T2_NS_24const_host_device_scalarIT1_EEPKT4_lPKT5_lS7_PT6_PKS3_21rocsparse_index_base_b,"axG",@progbits,_ZN9rocsparseL16sddmm_ell_kernelILi512ELi2EDF16_llDF16_DF16_DF16_EEv20rocsparse_operation_S1_16rocsparse_order_S2_T3_S3_S3_T2_NS_24const_host_device_scalarIT1_EEPKT4_lPKT5_lS7_PT6_PKS3_21rocsparse_index_base_b,comdat
	.globl	_ZN9rocsparseL16sddmm_ell_kernelILi512ELi2EDF16_llDF16_DF16_DF16_EEv20rocsparse_operation_S1_16rocsparse_order_S2_T3_S3_S3_T2_NS_24const_host_device_scalarIT1_EEPKT4_lPKT5_lS7_PT6_PKS3_21rocsparse_index_base_b ; -- Begin function _ZN9rocsparseL16sddmm_ell_kernelILi512ELi2EDF16_llDF16_DF16_DF16_EEv20rocsparse_operation_S1_16rocsparse_order_S2_T3_S3_S3_T2_NS_24const_host_device_scalarIT1_EEPKT4_lPKT5_lS7_PT6_PKS3_21rocsparse_index_base_b
	.p2align	8
	.type	_ZN9rocsparseL16sddmm_ell_kernelILi512ELi2EDF16_llDF16_DF16_DF16_EEv20rocsparse_operation_S1_16rocsparse_order_S2_T3_S3_S3_T2_NS_24const_host_device_scalarIT1_EEPKT4_lPKT5_lS7_PT6_PKS3_21rocsparse_index_base_b,@function
_ZN9rocsparseL16sddmm_ell_kernelILi512ELi2EDF16_llDF16_DF16_DF16_EEv20rocsparse_operation_S1_16rocsparse_order_S2_T3_S3_S3_T2_NS_24const_host_device_scalarIT1_EEPKT4_lPKT5_lS7_PT6_PKS3_21rocsparse_index_base_b: ; @_ZN9rocsparseL16sddmm_ell_kernelILi512ELi2EDF16_llDF16_DF16_DF16_EEv20rocsparse_operation_S1_16rocsparse_order_S2_T3_S3_S3_T2_NS_24const_host_device_scalarIT1_EEPKT4_lPKT5_lS7_PT6_PKS3_21rocsparse_index_base_b
; %bb.0:
	s_clause 0x2
	s_load_b64 s[12:13], s[0:1], 0x70
	s_load_b64 s[2:3], s[0:1], 0x30
	s_load_b128 s[8:11], s[0:1], 0x50
	s_waitcnt lgkmcnt(0)
	s_bitcmp1_b32 s13, 0
	v_mov_b32_e32 v11, s2
	s_cselect_b32 s4, -1, 0
	s_delay_alu instid0(SALU_CYCLE_1)
	s_and_b32 vcc_lo, exec_lo, s4
	s_xor_b32 s4, s4, -1
	s_cbranch_vccnz .LBB34_2
; %bb.1:
	v_mov_b32_e32 v1, 0
	global_load_u16 v11, v1, s[2:3]
.LBB34_2:
	v_mov_b32_e32 v12, s10
	s_and_not1_b32 vcc_lo, exec_lo, s4
	s_cbranch_vccnz .LBB34_4
; %bb.3:
	v_mov_b32_e32 v1, 0
	global_load_u16 v12, v1, s[10:11]
.LBB34_4:
	s_waitcnt vmcnt(0)
	v_cmp_eq_f16_e32 vcc_lo, 0, v11
	v_cmp_eq_f16_e64 s2, 1.0, v12
	s_delay_alu instid0(VALU_DEP_1) | instskip(NEXT) | instid1(SALU_CYCLE_1)
	s_and_b32 s2, vcc_lo, s2
	s_and_b32 vcc_lo, exec_lo, s2
	s_cbranch_vccnz .LBB34_35
; %bb.5:
	s_load_b128 s[4:7], s[0:1], 0x20
	v_lshrrev_b32_e32 v13, 1, v0
	v_mov_b32_e32 v2, 0
	s_mov_b32 s2, exec_lo
	s_delay_alu instid0(VALU_DEP_2) | instskip(SKIP_1) | instid1(VALU_DEP_1)
	v_lshl_or_b32 v1, s15, 8, v13
	s_waitcnt lgkmcnt(0)
	v_cmpx_gt_i64_e64 s[6:7], v[1:2]
	s_cbranch_execz .LBB34_35
; %bb.6:
	s_clause 0x1
	s_load_b64 s[10:11], s[0:1], 0x10
	s_load_b64 s[6:7], s[0:1], 0x68
	s_mov_b32 s2, 0
                                        ; implicit-def: $vgpr7_vgpr8
	s_waitcnt lgkmcnt(0)
	s_mov_b32 s3, s11
	s_delay_alu instid0(SALU_CYCLE_1) | instskip(SKIP_1) | instid1(SALU_CYCLE_1)
	s_cmp_lg_u64 s[2:3], 0
	s_cselect_b32 s2, -1, 0
	s_and_saveexec_b32 s3, s2
	s_delay_alu instid0(SALU_CYCLE_1)
	s_xor_b32 s3, exec_lo, s3
	s_cbranch_execz .LBB34_8
; %bb.7:
	s_ashr_i32 s14, s11, 31
	s_delay_alu instid0(SALU_CYCLE_1) | instskip(SKIP_2) | instid1(SALU_CYCLE_1)
	s_add_u32 s16, s10, s14
	s_mov_b32 s15, s14
	s_addc_u32 s17, s11, s14
	s_xor_b64 s[14:15], s[16:17], s[14:15]
	s_delay_alu instid0(SALU_CYCLE_1) | instskip(SKIP_3) | instid1(VALU_DEP_1)
	v_cvt_f32_u32_e32 v3, s14
	v_cvt_f32_u32_e32 v4, s15
	s_sub_u32 s2, 0, s14
	s_subb_u32 s11, 0, s15
	v_fmamk_f32 v3, v4, 0x4f800000, v3
	s_delay_alu instid0(VALU_DEP_1) | instskip(SKIP_2) | instid1(VALU_DEP_1)
	v_rcp_f32_e32 v3, v3
	s_waitcnt_depctr 0xfff
	v_mul_f32_e32 v3, 0x5f7ffffc, v3
	v_mul_f32_e32 v4, 0x2f800000, v3
	s_delay_alu instid0(VALU_DEP_1) | instskip(NEXT) | instid1(VALU_DEP_1)
	v_trunc_f32_e32 v4, v4
	v_fmamk_f32 v3, v4, 0xcf800000, v3
	v_cvt_u32_f32_e32 v4, v4
	s_delay_alu instid0(VALU_DEP_2) | instskip(NEXT) | instid1(VALU_DEP_2)
	v_cvt_u32_f32_e32 v3, v3
	v_mul_lo_u32 v5, s2, v4
	s_delay_alu instid0(VALU_DEP_2) | instskip(SKIP_1) | instid1(VALU_DEP_2)
	v_mul_hi_u32 v6, s2, v3
	v_mul_lo_u32 v7, s11, v3
	v_add_nc_u32_e32 v5, v6, v5
	v_mul_lo_u32 v6, s2, v3
	s_delay_alu instid0(VALU_DEP_2) | instskip(NEXT) | instid1(VALU_DEP_2)
	v_add_nc_u32_e32 v5, v5, v7
	v_mul_hi_u32 v7, v3, v6
	s_delay_alu instid0(VALU_DEP_2)
	v_mul_lo_u32 v8, v3, v5
	v_mul_hi_u32 v9, v3, v5
	v_mul_hi_u32 v10, v4, v6
	v_mul_lo_u32 v6, v4, v6
	v_mul_hi_u32 v14, v4, v5
	v_mul_lo_u32 v5, v4, v5
	v_add_co_u32 v7, vcc_lo, v7, v8
	v_add_co_ci_u32_e32 v8, vcc_lo, 0, v9, vcc_lo
	s_delay_alu instid0(VALU_DEP_2) | instskip(NEXT) | instid1(VALU_DEP_2)
	v_add_co_u32 v6, vcc_lo, v7, v6
	v_add_co_ci_u32_e32 v6, vcc_lo, v8, v10, vcc_lo
	v_add_co_ci_u32_e32 v7, vcc_lo, 0, v14, vcc_lo
	s_delay_alu instid0(VALU_DEP_2) | instskip(NEXT) | instid1(VALU_DEP_2)
	v_add_co_u32 v5, vcc_lo, v6, v5
	v_add_co_ci_u32_e32 v6, vcc_lo, 0, v7, vcc_lo
	s_delay_alu instid0(VALU_DEP_2) | instskip(NEXT) | instid1(VALU_DEP_2)
	v_add_co_u32 v3, vcc_lo, v3, v5
	v_add_co_ci_u32_e32 v4, vcc_lo, v4, v6, vcc_lo
	s_delay_alu instid0(VALU_DEP_2) | instskip(SKIP_1) | instid1(VALU_DEP_3)
	v_mul_hi_u32 v5, s2, v3
	v_mul_lo_u32 v7, s11, v3
	v_mul_lo_u32 v6, s2, v4
	s_delay_alu instid0(VALU_DEP_1) | instskip(SKIP_1) | instid1(VALU_DEP_2)
	v_add_nc_u32_e32 v5, v5, v6
	v_mul_lo_u32 v6, s2, v3
	v_add_nc_u32_e32 v5, v5, v7
	s_delay_alu instid0(VALU_DEP_2) | instskip(NEXT) | instid1(VALU_DEP_2)
	v_mul_hi_u32 v7, v3, v6
	v_mul_lo_u32 v8, v3, v5
	v_mul_hi_u32 v9, v3, v5
	v_mul_hi_u32 v10, v4, v6
	v_mul_lo_u32 v6, v4, v6
	v_mul_hi_u32 v14, v4, v5
	v_mul_lo_u32 v5, v4, v5
	v_add_co_u32 v7, vcc_lo, v7, v8
	v_add_co_ci_u32_e32 v8, vcc_lo, 0, v9, vcc_lo
	s_delay_alu instid0(VALU_DEP_2) | instskip(NEXT) | instid1(VALU_DEP_2)
	v_add_co_u32 v6, vcc_lo, v7, v6
	v_add_co_ci_u32_e32 v6, vcc_lo, v8, v10, vcc_lo
	v_add_co_ci_u32_e32 v7, vcc_lo, 0, v14, vcc_lo
	s_delay_alu instid0(VALU_DEP_2) | instskip(NEXT) | instid1(VALU_DEP_2)
	v_add_co_u32 v5, vcc_lo, v6, v5
	v_add_co_ci_u32_e32 v6, vcc_lo, 0, v7, vcc_lo
	s_delay_alu instid0(VALU_DEP_2) | instskip(NEXT) | instid1(VALU_DEP_2)
	v_add_co_u32 v7, vcc_lo, v3, v5
	v_add_co_ci_u32_e32 v9, vcc_lo, v4, v6, vcc_lo
	s_delay_alu instid0(VALU_DEP_2) | instskip(SKIP_1) | instid1(VALU_DEP_3)
	v_mul_hi_u32 v10, v1, v7
	v_mad_u64_u32 v[5:6], null, 0, v7, 0
	v_mad_u64_u32 v[3:4], null, v1, v9, 0
	v_mad_u64_u32 v[7:8], null, 0, v9, 0
	s_delay_alu instid0(VALU_DEP_2) | instskip(NEXT) | instid1(VALU_DEP_3)
	v_add_co_u32 v3, vcc_lo, v10, v3
	v_add_co_ci_u32_e32 v4, vcc_lo, 0, v4, vcc_lo
	s_delay_alu instid0(VALU_DEP_2) | instskip(NEXT) | instid1(VALU_DEP_2)
	v_add_co_u32 v3, vcc_lo, v3, v5
	v_add_co_ci_u32_e32 v3, vcc_lo, v4, v6, vcc_lo
	v_add_co_ci_u32_e32 v4, vcc_lo, 0, v8, vcc_lo
	s_delay_alu instid0(VALU_DEP_2) | instskip(NEXT) | instid1(VALU_DEP_2)
	v_add_co_u32 v5, vcc_lo, v3, v7
	v_add_co_ci_u32_e32 v6, vcc_lo, 0, v4, vcc_lo
	s_delay_alu instid0(VALU_DEP_2) | instskip(SKIP_1) | instid1(VALU_DEP_3)
	v_mul_lo_u32 v7, s15, v5
	v_mad_u64_u32 v[3:4], null, s14, v5, 0
	v_mul_lo_u32 v5, s14, v6
	s_delay_alu instid0(VALU_DEP_2) | instskip(NEXT) | instid1(VALU_DEP_2)
	v_sub_co_u32 v3, vcc_lo, v1, v3
	v_add3_u32 v4, v4, v5, v7
	s_delay_alu instid0(VALU_DEP_1) | instskip(NEXT) | instid1(VALU_DEP_1)
	v_sub_nc_u32_e32 v5, 0, v4
	v_subrev_co_ci_u32_e64 v5, s2, s15, v5, vcc_lo
	v_sub_co_ci_u32_e32 v4, vcc_lo, 0, v4, vcc_lo
	v_sub_co_u32 v6, vcc_lo, v3, s14
	s_delay_alu instid0(VALU_DEP_1) | instskip(SKIP_3) | instid1(VALU_DEP_3)
	v_subrev_co_ci_u32_e64 v7, s2, 0, v5, vcc_lo
	v_cmp_le_u32_e64 s2, s14, v3
	v_subrev_co_ci_u32_e32 v5, vcc_lo, s15, v5, vcc_lo
	v_cmp_le_u32_e32 vcc_lo, s15, v4
	v_cndmask_b32_e64 v8, 0, -1, s2
	v_cmp_le_u32_e64 s2, s14, v6
	v_cndmask_b32_e64 v14, 0, -1, vcc_lo
	v_cmp_eq_u32_e32 vcc_lo, s15, v7
	s_delay_alu instid0(VALU_DEP_3) | instskip(SKIP_1) | instid1(VALU_DEP_1)
	v_cndmask_b32_e64 v9, 0, -1, s2
	v_cmp_le_u32_e64 s2, s15, v7
	v_cndmask_b32_e64 v10, 0, -1, s2
	v_cmp_eq_u32_e64 s2, s15, v4
	s_delay_alu instid0(VALU_DEP_2) | instskip(SKIP_2) | instid1(VALU_DEP_3)
	v_cndmask_b32_e32 v9, v10, v9, vcc_lo
	v_sub_co_u32 v10, vcc_lo, v6, s14
	v_subrev_co_ci_u32_e32 v5, vcc_lo, 0, v5, vcc_lo
	v_cmp_ne_u32_e32 vcc_lo, 0, v9
	v_cndmask_b32_e64 v8, v14, v8, s2
	s_delay_alu instid0(VALU_DEP_3) | instskip(NEXT) | instid1(VALU_DEP_2)
	v_dual_cndmask_b32 v5, v7, v5 :: v_dual_cndmask_b32 v6, v6, v10
	v_cmp_ne_u32_e32 vcc_lo, 0, v8
	s_delay_alu instid0(VALU_DEP_2) | instskip(NEXT) | instid1(VALU_DEP_1)
	v_dual_cndmask_b32 v3, v3, v6 :: v_dual_cndmask_b32 v4, v4, v5
	v_sub_co_u32 v7, vcc_lo, v3, 0
	s_delay_alu instid0(VALU_DEP_2)
	v_subrev_co_ci_u32_e32 v8, vcc_lo, 0, v4, vcc_lo
.LBB34_8:
	s_and_not1_saveexec_b32 s2, s3
	s_cbranch_execz .LBB34_10
; %bb.9:
	v_cvt_f32_u32_e32 v3, s10
	s_sub_i32 s3, 0, s10
	v_mov_b32_e32 v8, 0
	s_delay_alu instid0(VALU_DEP_2) | instskip(SKIP_2) | instid1(VALU_DEP_1)
	v_rcp_iflag_f32_e32 v3, v3
	s_waitcnt_depctr 0xfff
	v_mul_f32_e32 v3, 0x4f7ffffe, v3
	v_cvt_u32_f32_e32 v3, v3
	s_delay_alu instid0(VALU_DEP_1) | instskip(NEXT) | instid1(VALU_DEP_1)
	v_mul_lo_u32 v4, s3, v3
	v_mul_hi_u32 v4, v3, v4
	s_delay_alu instid0(VALU_DEP_1) | instskip(NEXT) | instid1(VALU_DEP_1)
	v_add_nc_u32_e32 v3, v3, v4
	v_mul_hi_u32 v3, v1, v3
	s_delay_alu instid0(VALU_DEP_1) | instskip(NEXT) | instid1(VALU_DEP_1)
	v_mul_lo_u32 v3, v3, s10
	v_sub_nc_u32_e32 v3, v1, v3
	s_delay_alu instid0(VALU_DEP_1) | instskip(SKIP_1) | instid1(VALU_DEP_2)
	v_subrev_nc_u32_e32 v4, s10, v3
	v_cmp_le_u32_e32 vcc_lo, s10, v3
	v_cndmask_b32_e32 v3, v3, v4, vcc_lo
	s_delay_alu instid0(VALU_DEP_1) | instskip(SKIP_1) | instid1(VALU_DEP_2)
	v_subrev_nc_u32_e32 v4, s10, v3
	v_cmp_le_u32_e32 vcc_lo, s10, v3
	v_cndmask_b32_e32 v7, v3, v4, vcc_lo
.LBB34_10:
	s_or_b32 exec_lo, exec_lo, s2
	v_lshlrev_b64 v[3:4], 3, v[1:2]
	s_delay_alu instid0(VALU_DEP_1) | instskip(NEXT) | instid1(VALU_DEP_2)
	v_add_co_u32 v3, vcc_lo, s6, v3
	v_add_co_ci_u32_e32 v4, vcc_lo, s7, v4, vcc_lo
	global_load_b64 v[3:4], v[3:4], off
	s_waitcnt vmcnt(0)
	v_sub_co_u32 v5, vcc_lo, v3, s12
	v_subrev_co_ci_u32_e32 v6, vcc_lo, 0, v4, vcc_lo
	s_delay_alu instid0(VALU_DEP_1)
	v_cmp_lt_i64_e32 vcc_lo, -1, v[5:6]
	s_and_b32 exec_lo, exec_lo, vcc_lo
	s_cbranch_execz .LBB34_35
; %bb.11:
	s_clause 0x1
	s_load_b128 s[12:15], s[0:1], 0x0
	s_load_b64 s[2:3], s[0:1], 0x40
	s_waitcnt lgkmcnt(0)
	s_cmp_eq_u32 s14, 1
	s_cselect_b32 s10, -1, 0
	s_cmpk_eq_i32 s12, 0x6f
	s_cselect_b32 s11, -1, 0
	s_cmpk_lg_i32 s12, 0x6f
	s_cselect_b32 s6, -1, 0
	s_cmp_lg_u32 s14, 1
	s_cbranch_scc0 .LBB34_15
; %bb.12:
	v_dual_mov_b32 v3, v7 :: v_dual_mov_b32 v4, v8
	s_and_not1_b32 vcc_lo, exec_lo, s11
	s_cbranch_vccnz .LBB34_14
; %bb.13:
	v_mul_lo_u32 v9, v8, s2
	v_mul_lo_u32 v10, v7, s3
	v_mad_u64_u32 v[3:4], null, v7, s2, 0
	s_delay_alu instid0(VALU_DEP_1)
	v_add3_u32 v4, v4, v10, v9
.LBB34_14:
	s_cbranch_execz .LBB34_16
	s_branch .LBB34_19
.LBB34_15:
                                        ; implicit-def: $vgpr3_vgpr4
.LBB34_16:
	s_and_not1_b32 vcc_lo, exec_lo, s6
	s_cbranch_vccnz .LBB34_18
; %bb.17:
	v_mul_lo_u32 v8, v8, s2
	v_mul_lo_u32 v9, v7, s3
	v_mad_u64_u32 v[3:4], null, v7, s2, 0
	s_delay_alu instid0(VALU_DEP_1) | instskip(NEXT) | instid1(VALU_DEP_1)
	v_add3_u32 v4, v4, v9, v8
	v_dual_mov_b32 v8, v4 :: v_dual_mov_b32 v7, v3
.LBB34_18:
	s_delay_alu instid0(VALU_DEP_1)
	v_dual_mov_b32 v3, v7 :: v_dual_mov_b32 v4, v8
.LBB34_19:
	s_cmp_eq_u32 s15, 1
	s_cselect_b32 s14, -1, 0
	s_cmpk_eq_i32 s13, 0x6f
	s_cselect_b32 s16, -1, 0
	s_cmpk_lg_i32 s13, 0x6f
	s_cselect_b32 s6, -1, 0
	s_cmp_lg_u32 s15, 1
	s_cbranch_scc0 .LBB34_23
; %bb.20:
	v_dual_mov_b32 v8, v6 :: v_dual_mov_b32 v7, v5
	s_and_not1_b32 vcc_lo, exec_lo, s6
	s_cbranch_vccnz .LBB34_22
; %bb.21:
	v_mul_lo_u32 v9, v6, s8
	v_mul_lo_u32 v10, v5, s9
	v_mad_u64_u32 v[7:8], null, v5, s8, 0
	s_delay_alu instid0(VALU_DEP_1)
	v_add3_u32 v8, v8, v10, v9
.LBB34_22:
	s_cbranch_execz .LBB34_24
	s_branch .LBB34_27
.LBB34_23:
                                        ; implicit-def: $vgpr7_vgpr8
.LBB34_24:
	s_and_not1_b32 vcc_lo, exec_lo, s16
	s_cbranch_vccnz .LBB34_26
; %bb.25:
	v_mul_lo_u32 v8, v6, s8
	v_mul_lo_u32 v9, v5, s9
	v_mad_u64_u32 v[6:7], null, v5, s8, 0
	s_delay_alu instid0(VALU_DEP_1) | instskip(NEXT) | instid1(VALU_DEP_2)
	v_add3_u32 v7, v7, v9, v8
	v_mov_b32_e32 v5, v6
	s_delay_alu instid0(VALU_DEP_2)
	v_mov_b32_e32 v6, v7
.LBB34_26:
	s_delay_alu instid0(VALU_DEP_1)
	v_dual_mov_b32 v8, v6 :: v_dual_mov_b32 v7, v5
.LBB34_27:
	s_load_b64 s[6:7], s[0:1], 0x60
	v_dual_mov_b32 v6, 0 :: v_dual_and_b32 v5, 1, v0
	s_mov_b32 s12, exec_lo
	s_delay_alu instid0(VALU_DEP_1)
	v_cmpx_gt_i64_e64 s[4:5], v[5:6]
	s_cbranch_execz .LBB34_31
; %bb.28:
	s_xor_b32 s10, s11, s10
	v_lshlrev_b64 v[7:8], 1, v[7:8]
	s_and_b32 s10, s10, exec_lo
	s_cselect_b32 s11, 0, s3
	s_cselect_b32 s10, 1, s2
	s_xor_b32 s13, s16, s14
	s_load_b64 s[2:3], s[0:1], 0x48
	s_and_b32 s13, s13, exec_lo
	s_cselect_b32 s9, s9, 0
	s_cselect_b32 s8, s8, 1
	v_mul_lo_u32 v10, s9, v5
	v_mul_lo_u32 v9, s8, v5
	s_load_b64 s[0:1], s[0:1], 0x38
	v_mul_lo_u32 v15, s11, v5
	v_mul_lo_u32 v14, s10, v5
	v_lshlrev_b64 v[16:17], 1, v[3:4]
	s_delay_alu instid0(VALU_DEP_4) | instskip(NEXT) | instid1(VALU_DEP_1)
	v_lshlrev_b64 v[9:10], 1, v[9:10]
	v_add_co_u32 v0, vcc_lo, v9, v7
	s_delay_alu instid0(VALU_DEP_2) | instskip(SKIP_2) | instid1(VALU_DEP_3)
	v_add_co_ci_u32_e32 v4, vcc_lo, v10, v8, vcc_lo
	v_lshlrev_b64 v[7:8], 1, v[14:15]
	s_waitcnt lgkmcnt(0)
	v_add_co_u32 v3, vcc_lo, s2, v0
	s_delay_alu instid0(VALU_DEP_3) | instskip(SKIP_1) | instid1(VALU_DEP_4)
	v_add_co_ci_u32_e32 v4, vcc_lo, s3, v4, vcc_lo
	v_mov_b32_e32 v14, 0
	v_add_co_u32 v0, vcc_lo, v7, v16
	v_add_co_ci_u32_e32 v8, vcc_lo, v8, v17, vcc_lo
	v_dual_mov_b32 v10, v6 :: v_dual_mov_b32 v9, v5
	s_delay_alu instid0(VALU_DEP_3) | instskip(NEXT) | instid1(VALU_DEP_3)
	v_add_co_u32 v7, vcc_lo, s0, v0
	v_add_co_ci_u32_e32 v8, vcc_lo, s1, v8, vcc_lo
	v_mov_b32_e32 v6, v14
	s_mov_b32 s1, 0
	s_lshl_b64 s[2:3], s[8:9], 2
	s_lshl_b64 s[8:9], s[10:11], 2
	.p2align	6
.LBB34_29:                              ; =>This Inner Loop Header: Depth=1
	global_load_u16 v0, v[7:8], off
	global_load_u16 v14, v[3:4], off
	v_add_co_u32 v9, vcc_lo, v9, 2
	v_add_co_ci_u32_e32 v10, vcc_lo, 0, v10, vcc_lo
	v_add_co_u32 v3, vcc_lo, v3, s2
	v_add_co_ci_u32_e32 v4, vcc_lo, s3, v4, vcc_lo
	s_delay_alu instid0(VALU_DEP_3) | instskip(SKIP_1) | instid1(VALU_DEP_1)
	v_cmp_le_i64_e32 vcc_lo, s[4:5], v[9:10]
	v_add_co_u32 v7, s0, v7, s8
	v_add_co_ci_u32_e64 v8, s0, s9, v8, s0
	s_or_b32 s1, vcc_lo, s1
	s_waitcnt vmcnt(0)
	v_fmac_f16_e32 v6, v0, v14
	s_and_not1_b32 exec_lo, exec_lo, s1
	s_cbranch_execnz .LBB34_29
; %bb.30:
	s_or_b32 exec_lo, exec_lo, s1
.LBB34_31:
	s_delay_alu instid0(SALU_CYCLE_1) | instskip(SKIP_2) | instid1(VALU_DEP_2)
	s_or_b32 exec_lo, exec_lo, s12
	v_lshlrev_b32_e32 v0, 2, v13
	v_cmp_eq_u32_e32 vcc_lo, 0, v5
	v_lshl_or_b32 v3, v5, 1, v0
	ds_store_b16 v3, v6
	s_waitcnt lgkmcnt(0)
	s_barrier
	buffer_gl0_inv
	s_and_saveexec_b32 s0, vcc_lo
	s_cbranch_execz .LBB34_33
; %bb.32:
	ds_load_u16 v4, v0 offset:2
	ds_load_u16 v5, v3
	s_waitcnt lgkmcnt(0)
	v_add_f16_e32 v4, v4, v5
	ds_store_b16 v3, v4
.LBB34_33:
	s_or_b32 exec_lo, exec_lo, s0
	s_waitcnt lgkmcnt(0)
	s_barrier
	buffer_gl0_inv
	s_and_b32 exec_lo, exec_lo, vcc_lo
	s_cbranch_execz .LBB34_35
; %bb.34:
	v_lshlrev_b64 v[1:2], 1, v[1:2]
	ds_load_u16 v0, v0
	v_add_co_u32 v1, vcc_lo, s6, v1
	v_add_co_ci_u32_e32 v2, vcc_lo, s7, v2, vcc_lo
	global_load_u16 v3, v[1:2], off
	s_waitcnt lgkmcnt(0)
	v_mul_f16_e32 v0, v11, v0
	s_waitcnt vmcnt(0)
	s_delay_alu instid0(VALU_DEP_1)
	v_fmac_f16_e32 v0, v12, v3
	global_store_b16 v[1:2], v0, off
.LBB34_35:
	s_nop 0
	s_sendmsg sendmsg(MSG_DEALLOC_VGPRS)
	s_endpgm
	.section	.rodata,"a",@progbits
	.p2align	6, 0x0
	.amdhsa_kernel _ZN9rocsparseL16sddmm_ell_kernelILi512ELi2EDF16_llDF16_DF16_DF16_EEv20rocsparse_operation_S1_16rocsparse_order_S2_T3_S3_S3_T2_NS_24const_host_device_scalarIT1_EEPKT4_lPKT5_lS7_PT6_PKS3_21rocsparse_index_base_b
		.amdhsa_group_segment_fixed_size 1024
		.amdhsa_private_segment_fixed_size 0
		.amdhsa_kernarg_size 120
		.amdhsa_user_sgpr_count 15
		.amdhsa_user_sgpr_dispatch_ptr 0
		.amdhsa_user_sgpr_queue_ptr 0
		.amdhsa_user_sgpr_kernarg_segment_ptr 1
		.amdhsa_user_sgpr_dispatch_id 0
		.amdhsa_user_sgpr_private_segment_size 0
		.amdhsa_wavefront_size32 1
		.amdhsa_uses_dynamic_stack 0
		.amdhsa_enable_private_segment 0
		.amdhsa_system_sgpr_workgroup_id_x 1
		.amdhsa_system_sgpr_workgroup_id_y 0
		.amdhsa_system_sgpr_workgroup_id_z 0
		.amdhsa_system_sgpr_workgroup_info 0
		.amdhsa_system_vgpr_workitem_id 0
		.amdhsa_next_free_vgpr 18
		.amdhsa_next_free_sgpr 18
		.amdhsa_reserve_vcc 1
		.amdhsa_float_round_mode_32 0
		.amdhsa_float_round_mode_16_64 0
		.amdhsa_float_denorm_mode_32 3
		.amdhsa_float_denorm_mode_16_64 3
		.amdhsa_dx10_clamp 1
		.amdhsa_ieee_mode 1
		.amdhsa_fp16_overflow 0
		.amdhsa_workgroup_processor_mode 1
		.amdhsa_memory_ordered 1
		.amdhsa_forward_progress 0
		.amdhsa_shared_vgpr_count 0
		.amdhsa_exception_fp_ieee_invalid_op 0
		.amdhsa_exception_fp_denorm_src 0
		.amdhsa_exception_fp_ieee_div_zero 0
		.amdhsa_exception_fp_ieee_overflow 0
		.amdhsa_exception_fp_ieee_underflow 0
		.amdhsa_exception_fp_ieee_inexact 0
		.amdhsa_exception_int_div_zero 0
	.end_amdhsa_kernel
	.section	.text._ZN9rocsparseL16sddmm_ell_kernelILi512ELi2EDF16_llDF16_DF16_DF16_EEv20rocsparse_operation_S1_16rocsparse_order_S2_T3_S3_S3_T2_NS_24const_host_device_scalarIT1_EEPKT4_lPKT5_lS7_PT6_PKS3_21rocsparse_index_base_b,"axG",@progbits,_ZN9rocsparseL16sddmm_ell_kernelILi512ELi2EDF16_llDF16_DF16_DF16_EEv20rocsparse_operation_S1_16rocsparse_order_S2_T3_S3_S3_T2_NS_24const_host_device_scalarIT1_EEPKT4_lPKT5_lS7_PT6_PKS3_21rocsparse_index_base_b,comdat
.Lfunc_end34:
	.size	_ZN9rocsparseL16sddmm_ell_kernelILi512ELi2EDF16_llDF16_DF16_DF16_EEv20rocsparse_operation_S1_16rocsparse_order_S2_T3_S3_S3_T2_NS_24const_host_device_scalarIT1_EEPKT4_lPKT5_lS7_PT6_PKS3_21rocsparse_index_base_b, .Lfunc_end34-_ZN9rocsparseL16sddmm_ell_kernelILi512ELi2EDF16_llDF16_DF16_DF16_EEv20rocsparse_operation_S1_16rocsparse_order_S2_T3_S3_S3_T2_NS_24const_host_device_scalarIT1_EEPKT4_lPKT5_lS7_PT6_PKS3_21rocsparse_index_base_b
                                        ; -- End function
	.section	.AMDGPU.csdata,"",@progbits
; Kernel info:
; codeLenInByte = 2080
; NumSgprs: 20
; NumVgprs: 18
; ScratchSize: 0
; MemoryBound: 0
; FloatMode: 240
; IeeeMode: 1
; LDSByteSize: 1024 bytes/workgroup (compile time only)
; SGPRBlocks: 2
; VGPRBlocks: 2
; NumSGPRsForWavesPerEU: 20
; NumVGPRsForWavesPerEU: 18
; Occupancy: 16
; WaveLimiterHint : 0
; COMPUTE_PGM_RSRC2:SCRATCH_EN: 0
; COMPUTE_PGM_RSRC2:USER_SGPR: 15
; COMPUTE_PGM_RSRC2:TRAP_HANDLER: 0
; COMPUTE_PGM_RSRC2:TGID_X_EN: 1
; COMPUTE_PGM_RSRC2:TGID_Y_EN: 0
; COMPUTE_PGM_RSRC2:TGID_Z_EN: 0
; COMPUTE_PGM_RSRC2:TIDIG_COMP_CNT: 0
	.section	.text._ZN9rocsparseL16sddmm_ell_kernelILi512ELi1EDF16_llDF16_DF16_DF16_EEv20rocsparse_operation_S1_16rocsparse_order_S2_T3_S3_S3_T2_NS_24const_host_device_scalarIT1_EEPKT4_lPKT5_lS7_PT6_PKS3_21rocsparse_index_base_b,"axG",@progbits,_ZN9rocsparseL16sddmm_ell_kernelILi512ELi1EDF16_llDF16_DF16_DF16_EEv20rocsparse_operation_S1_16rocsparse_order_S2_T3_S3_S3_T2_NS_24const_host_device_scalarIT1_EEPKT4_lPKT5_lS7_PT6_PKS3_21rocsparse_index_base_b,comdat
	.globl	_ZN9rocsparseL16sddmm_ell_kernelILi512ELi1EDF16_llDF16_DF16_DF16_EEv20rocsparse_operation_S1_16rocsparse_order_S2_T3_S3_S3_T2_NS_24const_host_device_scalarIT1_EEPKT4_lPKT5_lS7_PT6_PKS3_21rocsparse_index_base_b ; -- Begin function _ZN9rocsparseL16sddmm_ell_kernelILi512ELi1EDF16_llDF16_DF16_DF16_EEv20rocsparse_operation_S1_16rocsparse_order_S2_T3_S3_S3_T2_NS_24const_host_device_scalarIT1_EEPKT4_lPKT5_lS7_PT6_PKS3_21rocsparse_index_base_b
	.p2align	8
	.type	_ZN9rocsparseL16sddmm_ell_kernelILi512ELi1EDF16_llDF16_DF16_DF16_EEv20rocsparse_operation_S1_16rocsparse_order_S2_T3_S3_S3_T2_NS_24const_host_device_scalarIT1_EEPKT4_lPKT5_lS7_PT6_PKS3_21rocsparse_index_base_b,@function
_ZN9rocsparseL16sddmm_ell_kernelILi512ELi1EDF16_llDF16_DF16_DF16_EEv20rocsparse_operation_S1_16rocsparse_order_S2_T3_S3_S3_T2_NS_24const_host_device_scalarIT1_EEPKT4_lPKT5_lS7_PT6_PKS3_21rocsparse_index_base_b: ; @_ZN9rocsparseL16sddmm_ell_kernelILi512ELi1EDF16_llDF16_DF16_DF16_EEv20rocsparse_operation_S1_16rocsparse_order_S2_T3_S3_S3_T2_NS_24const_host_device_scalarIT1_EEPKT4_lPKT5_lS7_PT6_PKS3_21rocsparse_index_base_b
; %bb.0:
	s_clause 0x2
	s_load_b64 s[12:13], s[0:1], 0x70
	s_load_b64 s[2:3], s[0:1], 0x30
	s_load_b128 s[8:11], s[0:1], 0x50
	s_waitcnt lgkmcnt(0)
	s_bitcmp1_b32 s13, 0
	v_mov_b32_e32 v9, s2
	s_cselect_b32 s4, -1, 0
	s_delay_alu instid0(SALU_CYCLE_1)
	s_and_b32 vcc_lo, exec_lo, s4
	s_xor_b32 s4, s4, -1
	s_cbranch_vccnz .LBB35_2
; %bb.1:
	v_mov_b32_e32 v1, 0
	global_load_u16 v9, v1, s[2:3]
.LBB35_2:
	v_mov_b32_e32 v10, s10
	s_and_not1_b32 vcc_lo, exec_lo, s4
	s_cbranch_vccnz .LBB35_4
; %bb.3:
	v_mov_b32_e32 v1, 0
	global_load_u16 v10, v1, s[10:11]
.LBB35_4:
	s_waitcnt vmcnt(0)
	v_cmp_eq_f16_e32 vcc_lo, 0, v9
	v_cmp_eq_f16_e64 s2, 1.0, v10
	s_delay_alu instid0(VALU_DEP_1) | instskip(NEXT) | instid1(SALU_CYCLE_1)
	s_and_b32 s2, vcc_lo, s2
	s_and_b32 vcc_lo, exec_lo, s2
	s_cbranch_vccnz .LBB35_32
; %bb.5:
	s_load_b128 s[4:7], s[0:1], 0x20
	v_lshl_or_b32 v1, s15, 9, v0
	v_mov_b32_e32 v2, 0
	s_mov_b32 s2, exec_lo
	s_waitcnt lgkmcnt(0)
	s_delay_alu instid0(VALU_DEP_1)
	v_cmpx_gt_i64_e64 s[6:7], v[1:2]
	s_cbranch_execz .LBB35_32
; %bb.6:
	s_clause 0x1
	s_load_b64 s[10:11], s[0:1], 0x10
	s_load_b64 s[6:7], s[0:1], 0x68
	s_mov_b32 s2, 0
                                        ; implicit-def: $vgpr7_vgpr8
	s_waitcnt lgkmcnt(0)
	s_mov_b32 s3, s11
	s_delay_alu instid0(SALU_CYCLE_1) | instskip(SKIP_1) | instid1(SALU_CYCLE_1)
	s_cmp_lg_u64 s[2:3], 0
	s_cselect_b32 s2, -1, 0
	s_and_saveexec_b32 s3, s2
	s_delay_alu instid0(SALU_CYCLE_1)
	s_xor_b32 s3, exec_lo, s3
	s_cbranch_execz .LBB35_8
; %bb.7:
	s_ashr_i32 s14, s11, 31
	s_delay_alu instid0(SALU_CYCLE_1) | instskip(SKIP_2) | instid1(SALU_CYCLE_1)
	s_add_u32 s16, s10, s14
	s_mov_b32 s15, s14
	s_addc_u32 s17, s11, s14
	s_xor_b64 s[14:15], s[16:17], s[14:15]
	s_delay_alu instid0(SALU_CYCLE_1) | instskip(SKIP_3) | instid1(VALU_DEP_1)
	v_cvt_f32_u32_e32 v3, s14
	v_cvt_f32_u32_e32 v4, s15
	s_sub_u32 s2, 0, s14
	s_subb_u32 s11, 0, s15
	v_fmamk_f32 v3, v4, 0x4f800000, v3
	s_delay_alu instid0(VALU_DEP_1) | instskip(SKIP_2) | instid1(VALU_DEP_1)
	v_rcp_f32_e32 v3, v3
	s_waitcnt_depctr 0xfff
	v_mul_f32_e32 v3, 0x5f7ffffc, v3
	v_mul_f32_e32 v4, 0x2f800000, v3
	s_delay_alu instid0(VALU_DEP_1) | instskip(NEXT) | instid1(VALU_DEP_1)
	v_trunc_f32_e32 v4, v4
	v_fmamk_f32 v3, v4, 0xcf800000, v3
	v_cvt_u32_f32_e32 v4, v4
	s_delay_alu instid0(VALU_DEP_2) | instskip(NEXT) | instid1(VALU_DEP_2)
	v_cvt_u32_f32_e32 v3, v3
	v_mul_lo_u32 v5, s2, v4
	s_delay_alu instid0(VALU_DEP_2) | instskip(SKIP_1) | instid1(VALU_DEP_2)
	v_mul_hi_u32 v6, s2, v3
	v_mul_lo_u32 v7, s11, v3
	v_add_nc_u32_e32 v5, v6, v5
	v_mul_lo_u32 v6, s2, v3
	s_delay_alu instid0(VALU_DEP_2) | instskip(NEXT) | instid1(VALU_DEP_2)
	v_add_nc_u32_e32 v5, v5, v7
	v_mul_hi_u32 v7, v3, v6
	s_delay_alu instid0(VALU_DEP_2)
	v_mul_lo_u32 v8, v3, v5
	v_mul_hi_u32 v11, v3, v5
	v_mul_hi_u32 v12, v4, v6
	v_mul_lo_u32 v6, v4, v6
	v_mul_hi_u32 v13, v4, v5
	v_mul_lo_u32 v5, v4, v5
	v_add_co_u32 v7, vcc_lo, v7, v8
	v_add_co_ci_u32_e32 v8, vcc_lo, 0, v11, vcc_lo
	s_delay_alu instid0(VALU_DEP_2) | instskip(NEXT) | instid1(VALU_DEP_2)
	v_add_co_u32 v6, vcc_lo, v7, v6
	v_add_co_ci_u32_e32 v6, vcc_lo, v8, v12, vcc_lo
	v_add_co_ci_u32_e32 v7, vcc_lo, 0, v13, vcc_lo
	s_delay_alu instid0(VALU_DEP_2) | instskip(NEXT) | instid1(VALU_DEP_2)
	v_add_co_u32 v5, vcc_lo, v6, v5
	v_add_co_ci_u32_e32 v6, vcc_lo, 0, v7, vcc_lo
	s_delay_alu instid0(VALU_DEP_2) | instskip(NEXT) | instid1(VALU_DEP_2)
	v_add_co_u32 v3, vcc_lo, v3, v5
	v_add_co_ci_u32_e32 v4, vcc_lo, v4, v6, vcc_lo
	s_delay_alu instid0(VALU_DEP_2) | instskip(SKIP_1) | instid1(VALU_DEP_3)
	v_mul_hi_u32 v5, s2, v3
	v_mul_lo_u32 v7, s11, v3
	v_mul_lo_u32 v6, s2, v4
	s_delay_alu instid0(VALU_DEP_1) | instskip(SKIP_1) | instid1(VALU_DEP_2)
	v_add_nc_u32_e32 v5, v5, v6
	v_mul_lo_u32 v6, s2, v3
	v_add_nc_u32_e32 v5, v5, v7
	s_delay_alu instid0(VALU_DEP_2) | instskip(NEXT) | instid1(VALU_DEP_2)
	v_mul_hi_u32 v7, v3, v6
	v_mul_lo_u32 v8, v3, v5
	v_mul_hi_u32 v11, v3, v5
	v_mul_hi_u32 v12, v4, v6
	v_mul_lo_u32 v6, v4, v6
	v_mul_hi_u32 v13, v4, v5
	v_mul_lo_u32 v5, v4, v5
	v_add_co_u32 v7, vcc_lo, v7, v8
	v_add_co_ci_u32_e32 v8, vcc_lo, 0, v11, vcc_lo
	s_delay_alu instid0(VALU_DEP_2) | instskip(NEXT) | instid1(VALU_DEP_2)
	v_add_co_u32 v6, vcc_lo, v7, v6
	v_add_co_ci_u32_e32 v6, vcc_lo, v8, v12, vcc_lo
	v_add_co_ci_u32_e32 v7, vcc_lo, 0, v13, vcc_lo
	s_delay_alu instid0(VALU_DEP_2) | instskip(NEXT) | instid1(VALU_DEP_2)
	v_add_co_u32 v5, vcc_lo, v6, v5
	v_add_co_ci_u32_e32 v6, vcc_lo, 0, v7, vcc_lo
	s_delay_alu instid0(VALU_DEP_2) | instskip(NEXT) | instid1(VALU_DEP_2)
	v_add_co_u32 v7, vcc_lo, v3, v5
	v_add_co_ci_u32_e32 v11, vcc_lo, v4, v6, vcc_lo
	s_delay_alu instid0(VALU_DEP_2) | instskip(SKIP_1) | instid1(VALU_DEP_3)
	v_mul_hi_u32 v12, v1, v7
	v_mad_u64_u32 v[5:6], null, 0, v7, 0
	v_mad_u64_u32 v[3:4], null, v1, v11, 0
	;; [unrolled: 1-line block ×3, first 2 shown]
	s_delay_alu instid0(VALU_DEP_2) | instskip(NEXT) | instid1(VALU_DEP_3)
	v_add_co_u32 v3, vcc_lo, v12, v3
	v_add_co_ci_u32_e32 v4, vcc_lo, 0, v4, vcc_lo
	s_delay_alu instid0(VALU_DEP_2) | instskip(NEXT) | instid1(VALU_DEP_2)
	v_add_co_u32 v3, vcc_lo, v3, v5
	v_add_co_ci_u32_e32 v3, vcc_lo, v4, v6, vcc_lo
	v_add_co_ci_u32_e32 v4, vcc_lo, 0, v8, vcc_lo
	s_delay_alu instid0(VALU_DEP_2) | instskip(NEXT) | instid1(VALU_DEP_2)
	v_add_co_u32 v5, vcc_lo, v3, v7
	v_add_co_ci_u32_e32 v6, vcc_lo, 0, v4, vcc_lo
	s_delay_alu instid0(VALU_DEP_2) | instskip(SKIP_1) | instid1(VALU_DEP_3)
	v_mul_lo_u32 v7, s15, v5
	v_mad_u64_u32 v[3:4], null, s14, v5, 0
	v_mul_lo_u32 v5, s14, v6
	s_delay_alu instid0(VALU_DEP_2) | instskip(NEXT) | instid1(VALU_DEP_2)
	v_sub_co_u32 v3, vcc_lo, v1, v3
	v_add3_u32 v4, v4, v5, v7
	s_delay_alu instid0(VALU_DEP_1) | instskip(NEXT) | instid1(VALU_DEP_1)
	v_sub_nc_u32_e32 v5, 0, v4
	v_subrev_co_ci_u32_e64 v5, s2, s15, v5, vcc_lo
	v_sub_co_ci_u32_e32 v4, vcc_lo, 0, v4, vcc_lo
	v_sub_co_u32 v6, vcc_lo, v3, s14
	s_delay_alu instid0(VALU_DEP_1) | instskip(SKIP_3) | instid1(VALU_DEP_3)
	v_subrev_co_ci_u32_e64 v7, s2, 0, v5, vcc_lo
	v_cmp_le_u32_e64 s2, s14, v3
	v_subrev_co_ci_u32_e32 v5, vcc_lo, s15, v5, vcc_lo
	v_cmp_le_u32_e32 vcc_lo, s15, v4
	v_cndmask_b32_e64 v8, 0, -1, s2
	v_cmp_le_u32_e64 s2, s14, v6
	v_cndmask_b32_e64 v13, 0, -1, vcc_lo
	v_cmp_eq_u32_e32 vcc_lo, s15, v7
	s_delay_alu instid0(VALU_DEP_3) | instskip(SKIP_1) | instid1(VALU_DEP_1)
	v_cndmask_b32_e64 v11, 0, -1, s2
	v_cmp_le_u32_e64 s2, s15, v7
	v_cndmask_b32_e64 v12, 0, -1, s2
	v_cmp_eq_u32_e64 s2, s15, v4
	s_delay_alu instid0(VALU_DEP_2) | instskip(SKIP_2) | instid1(VALU_DEP_3)
	v_cndmask_b32_e32 v11, v12, v11, vcc_lo
	v_sub_co_u32 v12, vcc_lo, v6, s14
	v_subrev_co_ci_u32_e32 v5, vcc_lo, 0, v5, vcc_lo
	v_cmp_ne_u32_e32 vcc_lo, 0, v11
	v_cndmask_b32_e64 v8, v13, v8, s2
	s_delay_alu instid0(VALU_DEP_3) | instskip(NEXT) | instid1(VALU_DEP_2)
	v_dual_cndmask_b32 v5, v7, v5 :: v_dual_cndmask_b32 v6, v6, v12
	v_cmp_ne_u32_e32 vcc_lo, 0, v8
	s_delay_alu instid0(VALU_DEP_2) | instskip(NEXT) | instid1(VALU_DEP_1)
	v_dual_cndmask_b32 v3, v3, v6 :: v_dual_cndmask_b32 v4, v4, v5
	v_sub_co_u32 v7, vcc_lo, v3, 0
	s_delay_alu instid0(VALU_DEP_2)
	v_subrev_co_ci_u32_e32 v8, vcc_lo, 0, v4, vcc_lo
.LBB35_8:
	s_and_not1_saveexec_b32 s2, s3
	s_cbranch_execz .LBB35_10
; %bb.9:
	v_cvt_f32_u32_e32 v3, s10
	s_sub_i32 s3, 0, s10
	v_mov_b32_e32 v8, 0
	s_delay_alu instid0(VALU_DEP_2) | instskip(SKIP_2) | instid1(VALU_DEP_1)
	v_rcp_iflag_f32_e32 v3, v3
	s_waitcnt_depctr 0xfff
	v_mul_f32_e32 v3, 0x4f7ffffe, v3
	v_cvt_u32_f32_e32 v3, v3
	s_delay_alu instid0(VALU_DEP_1) | instskip(NEXT) | instid1(VALU_DEP_1)
	v_mul_lo_u32 v4, s3, v3
	v_mul_hi_u32 v4, v3, v4
	s_delay_alu instid0(VALU_DEP_1) | instskip(NEXT) | instid1(VALU_DEP_1)
	v_add_nc_u32_e32 v3, v3, v4
	v_mul_hi_u32 v3, v1, v3
	s_delay_alu instid0(VALU_DEP_1) | instskip(NEXT) | instid1(VALU_DEP_1)
	v_mul_lo_u32 v3, v3, s10
	v_sub_nc_u32_e32 v3, v1, v3
	s_delay_alu instid0(VALU_DEP_1) | instskip(SKIP_1) | instid1(VALU_DEP_2)
	v_subrev_nc_u32_e32 v4, s10, v3
	v_cmp_le_u32_e32 vcc_lo, s10, v3
	v_cndmask_b32_e32 v3, v3, v4, vcc_lo
	s_delay_alu instid0(VALU_DEP_1) | instskip(SKIP_1) | instid1(VALU_DEP_2)
	v_subrev_nc_u32_e32 v4, s10, v3
	v_cmp_le_u32_e32 vcc_lo, s10, v3
	v_cndmask_b32_e32 v7, v3, v4, vcc_lo
.LBB35_10:
	s_or_b32 exec_lo, exec_lo, s2
	v_lshlrev_b64 v[3:4], 3, v[1:2]
	s_delay_alu instid0(VALU_DEP_1) | instskip(NEXT) | instid1(VALU_DEP_2)
	v_add_co_u32 v3, vcc_lo, s6, v3
	v_add_co_ci_u32_e32 v4, vcc_lo, s7, v4, vcc_lo
	global_load_b64 v[3:4], v[3:4], off
	s_waitcnt vmcnt(0)
	v_sub_co_u32 v3, vcc_lo, v3, s12
	v_subrev_co_ci_u32_e32 v4, vcc_lo, 0, v4, vcc_lo
	s_delay_alu instid0(VALU_DEP_1)
	v_cmp_lt_i64_e32 vcc_lo, -1, v[3:4]
	s_and_b32 exec_lo, exec_lo, vcc_lo
	s_cbranch_execz .LBB35_32
; %bb.11:
	s_clause 0x1
	s_load_b128 s[12:15], s[0:1], 0x0
	s_load_b64 s[2:3], s[0:1], 0x40
	s_waitcnt lgkmcnt(0)
	s_cmp_eq_u32 s14, 1
	s_cselect_b32 s10, -1, 0
	s_cmpk_eq_i32 s12, 0x6f
	s_cselect_b32 s11, -1, 0
	s_cmpk_lg_i32 s12, 0x6f
	s_cselect_b32 s6, -1, 0
	s_cmp_lg_u32 s14, 1
	s_cbranch_scc0 .LBB35_15
; %bb.12:
	v_dual_mov_b32 v5, v7 :: v_dual_mov_b32 v6, v8
	s_and_not1_b32 vcc_lo, exec_lo, s11
	s_cbranch_vccnz .LBB35_14
; %bb.13:
	v_mul_lo_u32 v11, v8, s2
	v_mul_lo_u32 v12, v7, s3
	v_mad_u64_u32 v[5:6], null, v7, s2, 0
	s_delay_alu instid0(VALU_DEP_1)
	v_add3_u32 v6, v6, v12, v11
.LBB35_14:
	s_cbranch_execz .LBB35_16
	s_branch .LBB35_19
.LBB35_15:
                                        ; implicit-def: $vgpr5_vgpr6
.LBB35_16:
	s_and_not1_b32 vcc_lo, exec_lo, s6
	s_cbranch_vccnz .LBB35_18
; %bb.17:
	v_mul_lo_u32 v8, v8, s2
	v_mul_lo_u32 v11, v7, s3
	v_mad_u64_u32 v[5:6], null, v7, s2, 0
	s_delay_alu instid0(VALU_DEP_1) | instskip(NEXT) | instid1(VALU_DEP_1)
	v_add3_u32 v6, v6, v11, v8
	v_dual_mov_b32 v8, v6 :: v_dual_mov_b32 v7, v5
.LBB35_18:
	s_delay_alu instid0(VALU_DEP_1)
	v_dual_mov_b32 v5, v7 :: v_dual_mov_b32 v6, v8
.LBB35_19:
	s_cmp_eq_u32 s15, 1
	s_cselect_b32 s12, -1, 0
	s_cmpk_eq_i32 s13, 0x6f
	s_cselect_b32 s14, -1, 0
	s_cmpk_lg_i32 s13, 0x6f
	s_cselect_b32 s6, -1, 0
	s_cmp_lg_u32 s15, 1
	s_cbranch_scc0 .LBB35_23
; %bb.20:
	v_dual_mov_b32 v8, v4 :: v_dual_mov_b32 v7, v3
	s_and_not1_b32 vcc_lo, exec_lo, s6
	s_cbranch_vccnz .LBB35_22
; %bb.21:
	v_mul_lo_u32 v11, v4, s8
	v_mul_lo_u32 v12, v3, s9
	v_mad_u64_u32 v[7:8], null, v3, s8, 0
	s_delay_alu instid0(VALU_DEP_1)
	v_add3_u32 v8, v8, v12, v11
.LBB35_22:
	s_cbranch_execz .LBB35_24
	s_branch .LBB35_27
.LBB35_23:
                                        ; implicit-def: $vgpr7_vgpr8
.LBB35_24:
	s_and_not1_b32 vcc_lo, exec_lo, s14
	s_cbranch_vccnz .LBB35_26
; %bb.25:
	v_mul_lo_u32 v4, v4, s8
	v_mul_lo_u32 v11, v3, s9
	v_mad_u64_u32 v[7:8], null, v3, s8, 0
	s_delay_alu instid0(VALU_DEP_1) | instskip(NEXT) | instid1(VALU_DEP_1)
	v_add3_u32 v8, v8, v11, v4
	v_dual_mov_b32 v3, v7 :: v_dual_mov_b32 v4, v8
.LBB35_26:
	s_delay_alu instid0(VALU_DEP_1)
	v_dual_mov_b32 v8, v4 :: v_dual_mov_b32 v7, v3
.LBB35_27:
	s_load_b64 s[6:7], s[0:1], 0x60
	v_cmp_lt_i64_e64 s13, s[4:5], 1
	s_delay_alu instid0(VALU_DEP_1)
	s_and_b32 vcc_lo, exec_lo, s13
	s_cbranch_vccnz .LBB35_30
; %bb.28:
	s_clause 0x1
	s_load_b64 s[16:17], s[0:1], 0x48
	s_load_b64 s[0:1], s[0:1], 0x38
	v_lshlrev_b64 v[3:4], 1, v[7:8]
	v_lshlrev_b64 v[5:6], 1, v[5:6]
	s_xor_b32 s10, s11, s10
	v_mov_b32_e32 v7, 0
	s_and_b32 s10, s10, exec_lo
	s_cselect_b32 s3, 0, s3
	s_cselect_b32 s2, 1, s2
	s_xor_b32 s10, s14, s12
	s_delay_alu instid0(SALU_CYCLE_1)
	s_and_b32 s10, s10, exec_lo
	s_cselect_b32 s9, s9, 0
	s_cselect_b32 s8, s8, 1
	s_lshl_b64 s[2:3], s[2:3], 1
	s_waitcnt lgkmcnt(0)
	v_add_co_u32 v3, vcc_lo, s16, v3
	v_add_co_ci_u32_e32 v4, vcc_lo, s17, v4, vcc_lo
	v_add_co_u32 v5, vcc_lo, s0, v5
	v_add_co_ci_u32_e32 v6, vcc_lo, s1, v6, vcc_lo
	s_lshl_b64 s[0:1], s[8:9], 1
.LBB35_29:                              ; =>This Inner Loop Header: Depth=1
	global_load_u16 v8, v[5:6], off
	global_load_u16 v11, v[3:4], off
	v_add_co_u32 v3, vcc_lo, v3, s0
	v_add_co_ci_u32_e32 v4, vcc_lo, s1, v4, vcc_lo
	v_add_co_u32 v5, vcc_lo, v5, s2
	s_add_u32 s4, s4, -1
	v_add_co_ci_u32_e32 v6, vcc_lo, s3, v6, vcc_lo
	s_addc_u32 s5, s5, -1
	s_delay_alu instid0(SALU_CYCLE_1)
	s_cmp_eq_u64 s[4:5], 0
	s_waitcnt vmcnt(0)
	v_fmac_f16_e32 v7, v8, v11
	s_cbranch_scc0 .LBB35_29
	s_branch .LBB35_31
.LBB35_30:
	v_mov_b32_e32 v7, 0
.LBB35_31:
	v_lshlrev_b64 v[1:2], 1, v[1:2]
	v_lshlrev_b32_e32 v3, 1, v0
	ds_store_b16 v3, v7
	s_waitcnt lgkmcnt(0)
	v_add_co_u32 v0, vcc_lo, s6, v1
	v_add_co_ci_u32_e32 v1, vcc_lo, s7, v2, vcc_lo
	s_barrier
	buffer_gl0_inv
	global_load_u16 v2, v[0:1], off
	ds_load_u16 v3, v3
	s_waitcnt lgkmcnt(0)
	v_mul_f16_e32 v3, v9, v3
	s_waitcnt vmcnt(0)
	s_delay_alu instid0(VALU_DEP_1)
	v_fmac_f16_e32 v3, v10, v2
	global_store_b16 v[0:1], v3, off
.LBB35_32:
	s_nop 0
	s_sendmsg sendmsg(MSG_DEALLOC_VGPRS)
	s_endpgm
	.section	.rodata,"a",@progbits
	.p2align	6, 0x0
	.amdhsa_kernel _ZN9rocsparseL16sddmm_ell_kernelILi512ELi1EDF16_llDF16_DF16_DF16_EEv20rocsparse_operation_S1_16rocsparse_order_S2_T3_S3_S3_T2_NS_24const_host_device_scalarIT1_EEPKT4_lPKT5_lS7_PT6_PKS3_21rocsparse_index_base_b
		.amdhsa_group_segment_fixed_size 1024
		.amdhsa_private_segment_fixed_size 0
		.amdhsa_kernarg_size 120
		.amdhsa_user_sgpr_count 15
		.amdhsa_user_sgpr_dispatch_ptr 0
		.amdhsa_user_sgpr_queue_ptr 0
		.amdhsa_user_sgpr_kernarg_segment_ptr 1
		.amdhsa_user_sgpr_dispatch_id 0
		.amdhsa_user_sgpr_private_segment_size 0
		.amdhsa_wavefront_size32 1
		.amdhsa_uses_dynamic_stack 0
		.amdhsa_enable_private_segment 0
		.amdhsa_system_sgpr_workgroup_id_x 1
		.amdhsa_system_sgpr_workgroup_id_y 0
		.amdhsa_system_sgpr_workgroup_id_z 0
		.amdhsa_system_sgpr_workgroup_info 0
		.amdhsa_system_vgpr_workitem_id 0
		.amdhsa_next_free_vgpr 14
		.amdhsa_next_free_sgpr 18
		.amdhsa_reserve_vcc 1
		.amdhsa_float_round_mode_32 0
		.amdhsa_float_round_mode_16_64 0
		.amdhsa_float_denorm_mode_32 3
		.amdhsa_float_denorm_mode_16_64 3
		.amdhsa_dx10_clamp 1
		.amdhsa_ieee_mode 1
		.amdhsa_fp16_overflow 0
		.amdhsa_workgroup_processor_mode 1
		.amdhsa_memory_ordered 1
		.amdhsa_forward_progress 0
		.amdhsa_shared_vgpr_count 0
		.amdhsa_exception_fp_ieee_invalid_op 0
		.amdhsa_exception_fp_denorm_src 0
		.amdhsa_exception_fp_ieee_div_zero 0
		.amdhsa_exception_fp_ieee_overflow 0
		.amdhsa_exception_fp_ieee_underflow 0
		.amdhsa_exception_fp_ieee_inexact 0
		.amdhsa_exception_int_div_zero 0
	.end_amdhsa_kernel
	.section	.text._ZN9rocsparseL16sddmm_ell_kernelILi512ELi1EDF16_llDF16_DF16_DF16_EEv20rocsparse_operation_S1_16rocsparse_order_S2_T3_S3_S3_T2_NS_24const_host_device_scalarIT1_EEPKT4_lPKT5_lS7_PT6_PKS3_21rocsparse_index_base_b,"axG",@progbits,_ZN9rocsparseL16sddmm_ell_kernelILi512ELi1EDF16_llDF16_DF16_DF16_EEv20rocsparse_operation_S1_16rocsparse_order_S2_T3_S3_S3_T2_NS_24const_host_device_scalarIT1_EEPKT4_lPKT5_lS7_PT6_PKS3_21rocsparse_index_base_b,comdat
.Lfunc_end35:
	.size	_ZN9rocsparseL16sddmm_ell_kernelILi512ELi1EDF16_llDF16_DF16_DF16_EEv20rocsparse_operation_S1_16rocsparse_order_S2_T3_S3_S3_T2_NS_24const_host_device_scalarIT1_EEPKT4_lPKT5_lS7_PT6_PKS3_21rocsparse_index_base_b, .Lfunc_end35-_ZN9rocsparseL16sddmm_ell_kernelILi512ELi1EDF16_llDF16_DF16_DF16_EEv20rocsparse_operation_S1_16rocsparse_order_S2_T3_S3_S3_T2_NS_24const_host_device_scalarIT1_EEPKT4_lPKT5_lS7_PT6_PKS3_21rocsparse_index_base_b
                                        ; -- End function
	.section	.AMDGPU.csdata,"",@progbits
; Kernel info:
; codeLenInByte = 1868
; NumSgprs: 20
; NumVgprs: 14
; ScratchSize: 0
; MemoryBound: 0
; FloatMode: 240
; IeeeMode: 1
; LDSByteSize: 1024 bytes/workgroup (compile time only)
; SGPRBlocks: 2
; VGPRBlocks: 1
; NumSGPRsForWavesPerEU: 20
; NumVGPRsForWavesPerEU: 14
; Occupancy: 16
; WaveLimiterHint : 0
; COMPUTE_PGM_RSRC2:SCRATCH_EN: 0
; COMPUTE_PGM_RSRC2:USER_SGPR: 15
; COMPUTE_PGM_RSRC2:TRAP_HANDLER: 0
; COMPUTE_PGM_RSRC2:TGID_X_EN: 1
; COMPUTE_PGM_RSRC2:TGID_Y_EN: 0
; COMPUTE_PGM_RSRC2:TGID_Z_EN: 0
; COMPUTE_PGM_RSRC2:TIDIG_COMP_CNT: 0
	.section	.text._ZN9rocsparseL23sddmm_ell_sample_kernelILi16ELi32EflfEEvT2_S1_PKT3_lS1_PS2_PKS1_21rocsparse_index_base_,"axG",@progbits,_ZN9rocsparseL23sddmm_ell_sample_kernelILi16ELi32EflfEEvT2_S1_PKT3_lS1_PS2_PKS1_21rocsparse_index_base_,comdat
	.globl	_ZN9rocsparseL23sddmm_ell_sample_kernelILi16ELi32EflfEEvT2_S1_PKT3_lS1_PS2_PKS1_21rocsparse_index_base_ ; -- Begin function _ZN9rocsparseL23sddmm_ell_sample_kernelILi16ELi32EflfEEvT2_S1_PKT3_lS1_PS2_PKS1_21rocsparse_index_base_
	.p2align	8
	.type	_ZN9rocsparseL23sddmm_ell_sample_kernelILi16ELi32EflfEEvT2_S1_PKT3_lS1_PS2_PKS1_21rocsparse_index_base_,@function
_ZN9rocsparseL23sddmm_ell_sample_kernelILi16ELi32EflfEEvT2_S1_PKT3_lS1_PS2_PKS1_21rocsparse_index_base_: ; @_ZN9rocsparseL23sddmm_ell_sample_kernelILi16ELi32EflfEEvT2_S1_PKT3_lS1_PS2_PKS1_21rocsparse_index_base_
; %bb.0:
	s_load_b128 s[8:11], s[0:1], 0x18
	v_lshrrev_b32_e32 v2, 5, v0
	v_mov_b32_e32 v1, 0
	s_mov_b32 s2, exec_lo
	s_delay_alu instid0(VALU_DEP_2) | instskip(NEXT) | instid1(VALU_DEP_2)
	v_lshl_or_b32 v2, s15, 4, v2
	v_mov_b32_e32 v3, v1
	s_waitcnt lgkmcnt(0)
	s_delay_alu instid0(VALU_DEP_1)
	v_cmpx_gt_i64_e64 s[10:11], v[2:3]
	s_cbranch_execz .LBB36_6
; %bb.1:
	s_load_b128 s[4:7], s[0:1], 0x0
	v_and_b32_e32 v0, 31, v0
	s_waitcnt lgkmcnt(0)
	s_delay_alu instid0(VALU_DEP_1)
	v_cmp_gt_i64_e32 vcc_lo, s[4:5], v[0:1]
	s_and_b32 exec_lo, exec_lo, vcc_lo
	s_cbranch_execz .LBB36_6
; %bb.2:
	v_mad_u64_u32 v[3:4], null, v2, s4, v[0:1]
	s_clause 0x2
	s_load_b128 s[12:15], s[0:1], 0x28
	s_load_b64 s[2:3], s[0:1], 0x10
	s_load_b32 s1, s[0:1], 0x38
	s_mov_b32 s10, 0
	v_lshlrev_b32_e32 v9, 2, v0
	s_delay_alu instid0(VALU_DEP_2) | instskip(NEXT) | instid1(VALU_DEP_1)
	v_mad_u64_u32 v[5:6], null, v2, s5, v[4:5]
	v_mov_b32_e32 v4, v5
	s_delay_alu instid0(VALU_DEP_1) | instskip(SKIP_2) | instid1(VALU_DEP_2)
	v_lshlrev_b64 v[5:6], 3, v[3:4]
	v_lshlrev_b64 v[7:8], 2, v[3:4]
	s_waitcnt lgkmcnt(0)
	v_add_co_u32 v2, vcc_lo, s14, v5
	s_delay_alu instid0(VALU_DEP_3) | instskip(NEXT) | instid1(VALU_DEP_3)
	v_add_co_ci_u32_e32 v3, vcc_lo, s15, v6, vcc_lo
	v_add_co_u32 v4, vcc_lo, s12, v7
	v_add_co_u32 v6, s0, s2, v9
	v_add_co_ci_u32_e32 v5, vcc_lo, s13, v8, vcc_lo
	v_add_co_ci_u32_e64 v7, null, s3, 0, s0
	s_lshl_b64 s[2:3], s[8:9], 2
	s_set_inst_prefetch_distance 0x1
	s_branch .LBB36_4
	.p2align	6
.LBB36_3:                               ;   in Loop: Header=BB36_4 Depth=1
	s_or_b32 exec_lo, exec_lo, s0
	v_add_co_u32 v0, vcc_lo, v0, 32
	v_add_co_ci_u32_e32 v1, vcc_lo, 0, v1, vcc_lo
	v_add_co_u32 v2, vcc_lo, 0x100, v2
	v_add_co_ci_u32_e32 v3, vcc_lo, 0, v3, vcc_lo
	;; [unrolled: 2-line block ×3, first 2 shown]
	v_cmp_le_i64_e32 vcc_lo, s[4:5], v[0:1]
	v_add_co_u32 v6, s0, 0x80, v6
	s_delay_alu instid0(VALU_DEP_1) | instskip(SKIP_1) | instid1(SALU_CYCLE_1)
	v_add_co_ci_u32_e64 v7, s0, 0, v7, s0
	s_or_b32 s10, vcc_lo, s10
	s_and_not1_b32 exec_lo, exec_lo, s10
	s_cbranch_execz .LBB36_6
.LBB36_4:                               ; =>This Inner Loop Header: Depth=1
	global_load_b64 v[8:9], v[2:3], off
	s_waitcnt vmcnt(0)
	v_sub_co_u32 v8, vcc_lo, v8, s1
	v_subrev_co_ci_u32_e32 v9, vcc_lo, 0, v9, vcc_lo
	s_delay_alu instid0(VALU_DEP_1) | instskip(SKIP_1) | instid1(VALU_DEP_1)
	v_cmp_lt_i64_e32 vcc_lo, -1, v[8:9]
	v_cmp_gt_i64_e64 s0, s[6:7], v[8:9]
	s_and_b32 s8, vcc_lo, s0
	s_delay_alu instid0(SALU_CYCLE_1)
	s_and_saveexec_b32 s0, s8
	s_cbranch_execz .LBB36_3
; %bb.5:                                ;   in Loop: Header=BB36_4 Depth=1
	v_mad_u64_u32 v[10:11], null, s2, v8, v[6:7]
	v_mul_lo_u32 v9, s2, v9
	v_mul_lo_u32 v8, s3, v8
	s_delay_alu instid0(VALU_DEP_1)
	v_add3_u32 v11, v8, v11, v9
	global_load_b32 v8, v[10:11], off
	s_waitcnt vmcnt(0)
	global_store_b32 v[4:5], v8, off
	s_branch .LBB36_3
.LBB36_6:
	s_set_inst_prefetch_distance 0x2
	s_nop 0
	s_sendmsg sendmsg(MSG_DEALLOC_VGPRS)
	s_endpgm
	.section	.rodata,"a",@progbits
	.p2align	6, 0x0
	.amdhsa_kernel _ZN9rocsparseL23sddmm_ell_sample_kernelILi16ELi32EflfEEvT2_S1_PKT3_lS1_PS2_PKS1_21rocsparse_index_base_
		.amdhsa_group_segment_fixed_size 0
		.amdhsa_private_segment_fixed_size 0
		.amdhsa_kernarg_size 60
		.amdhsa_user_sgpr_count 15
		.amdhsa_user_sgpr_dispatch_ptr 0
		.amdhsa_user_sgpr_queue_ptr 0
		.amdhsa_user_sgpr_kernarg_segment_ptr 1
		.amdhsa_user_sgpr_dispatch_id 0
		.amdhsa_user_sgpr_private_segment_size 0
		.amdhsa_wavefront_size32 1
		.amdhsa_uses_dynamic_stack 0
		.amdhsa_enable_private_segment 0
		.amdhsa_system_sgpr_workgroup_id_x 1
		.amdhsa_system_sgpr_workgroup_id_y 0
		.amdhsa_system_sgpr_workgroup_id_z 0
		.amdhsa_system_sgpr_workgroup_info 0
		.amdhsa_system_vgpr_workitem_id 0
		.amdhsa_next_free_vgpr 12
		.amdhsa_next_free_sgpr 16
		.amdhsa_reserve_vcc 1
		.amdhsa_float_round_mode_32 0
		.amdhsa_float_round_mode_16_64 0
		.amdhsa_float_denorm_mode_32 3
		.amdhsa_float_denorm_mode_16_64 3
		.amdhsa_dx10_clamp 1
		.amdhsa_ieee_mode 1
		.amdhsa_fp16_overflow 0
		.amdhsa_workgroup_processor_mode 1
		.amdhsa_memory_ordered 1
		.amdhsa_forward_progress 0
		.amdhsa_shared_vgpr_count 0
		.amdhsa_exception_fp_ieee_invalid_op 0
		.amdhsa_exception_fp_denorm_src 0
		.amdhsa_exception_fp_ieee_div_zero 0
		.amdhsa_exception_fp_ieee_overflow 0
		.amdhsa_exception_fp_ieee_underflow 0
		.amdhsa_exception_fp_ieee_inexact 0
		.amdhsa_exception_int_div_zero 0
	.end_amdhsa_kernel
	.section	.text._ZN9rocsparseL23sddmm_ell_sample_kernelILi16ELi32EflfEEvT2_S1_PKT3_lS1_PS2_PKS1_21rocsparse_index_base_,"axG",@progbits,_ZN9rocsparseL23sddmm_ell_sample_kernelILi16ELi32EflfEEvT2_S1_PKT3_lS1_PS2_PKS1_21rocsparse_index_base_,comdat
.Lfunc_end36:
	.size	_ZN9rocsparseL23sddmm_ell_sample_kernelILi16ELi32EflfEEvT2_S1_PKT3_lS1_PS2_PKS1_21rocsparse_index_base_, .Lfunc_end36-_ZN9rocsparseL23sddmm_ell_sample_kernelILi16ELi32EflfEEvT2_S1_PKT3_lS1_PS2_PKS1_21rocsparse_index_base_
                                        ; -- End function
	.section	.AMDGPU.csdata,"",@progbits
; Kernel info:
; codeLenInByte = 448
; NumSgprs: 18
; NumVgprs: 12
; ScratchSize: 0
; MemoryBound: 0
; FloatMode: 240
; IeeeMode: 1
; LDSByteSize: 0 bytes/workgroup (compile time only)
; SGPRBlocks: 2
; VGPRBlocks: 1
; NumSGPRsForWavesPerEU: 18
; NumVGPRsForWavesPerEU: 12
; Occupancy: 16
; WaveLimiterHint : 1
; COMPUTE_PGM_RSRC2:SCRATCH_EN: 0
; COMPUTE_PGM_RSRC2:USER_SGPR: 15
; COMPUTE_PGM_RSRC2:TRAP_HANDLER: 0
; COMPUTE_PGM_RSRC2:TGID_X_EN: 1
; COMPUTE_PGM_RSRC2:TGID_Y_EN: 0
; COMPUTE_PGM_RSRC2:TGID_Z_EN: 0
; COMPUTE_PGM_RSRC2:TIDIG_COMP_CNT: 0
	.section	.text._ZN9rocsparseL23sddmm_ell_sample_kernelILi16ELi64EflfEEvT2_S1_PKT3_lS1_PS2_PKS1_21rocsparse_index_base_,"axG",@progbits,_ZN9rocsparseL23sddmm_ell_sample_kernelILi16ELi64EflfEEvT2_S1_PKT3_lS1_PS2_PKS1_21rocsparse_index_base_,comdat
	.globl	_ZN9rocsparseL23sddmm_ell_sample_kernelILi16ELi64EflfEEvT2_S1_PKT3_lS1_PS2_PKS1_21rocsparse_index_base_ ; -- Begin function _ZN9rocsparseL23sddmm_ell_sample_kernelILi16ELi64EflfEEvT2_S1_PKT3_lS1_PS2_PKS1_21rocsparse_index_base_
	.p2align	8
	.type	_ZN9rocsparseL23sddmm_ell_sample_kernelILi16ELi64EflfEEvT2_S1_PKT3_lS1_PS2_PKS1_21rocsparse_index_base_,@function
_ZN9rocsparseL23sddmm_ell_sample_kernelILi16ELi64EflfEEvT2_S1_PKT3_lS1_PS2_PKS1_21rocsparse_index_base_: ; @_ZN9rocsparseL23sddmm_ell_sample_kernelILi16ELi64EflfEEvT2_S1_PKT3_lS1_PS2_PKS1_21rocsparse_index_base_
; %bb.0:
	s_load_b128 s[8:11], s[0:1], 0x18
	v_lshrrev_b32_e32 v2, 6, v0
	v_mov_b32_e32 v1, 0
	s_mov_b32 s2, exec_lo
	s_delay_alu instid0(VALU_DEP_2) | instskip(NEXT) | instid1(VALU_DEP_2)
	v_lshl_or_b32 v2, s15, 4, v2
	v_mov_b32_e32 v3, v1
	s_waitcnt lgkmcnt(0)
	s_delay_alu instid0(VALU_DEP_1)
	v_cmpx_gt_i64_e64 s[10:11], v[2:3]
	s_cbranch_execz .LBB37_6
; %bb.1:
	s_load_b128 s[4:7], s[0:1], 0x0
	v_and_b32_e32 v0, 63, v0
	s_waitcnt lgkmcnt(0)
	s_delay_alu instid0(VALU_DEP_1)
	v_cmp_gt_i64_e32 vcc_lo, s[4:5], v[0:1]
	s_and_b32 exec_lo, exec_lo, vcc_lo
	s_cbranch_execz .LBB37_6
; %bb.2:
	v_mad_u64_u32 v[3:4], null, v2, s4, v[0:1]
	s_clause 0x2
	s_load_b128 s[12:15], s[0:1], 0x28
	s_load_b64 s[2:3], s[0:1], 0x10
	s_load_b32 s1, s[0:1], 0x38
	s_mov_b32 s10, 0
	v_lshlrev_b32_e32 v9, 2, v0
	s_delay_alu instid0(VALU_DEP_2) | instskip(NEXT) | instid1(VALU_DEP_1)
	v_mad_u64_u32 v[5:6], null, v2, s5, v[4:5]
	v_mov_b32_e32 v4, v5
	s_delay_alu instid0(VALU_DEP_1) | instskip(SKIP_2) | instid1(VALU_DEP_2)
	v_lshlrev_b64 v[5:6], 3, v[3:4]
	v_lshlrev_b64 v[7:8], 2, v[3:4]
	s_waitcnt lgkmcnt(0)
	v_add_co_u32 v2, vcc_lo, s14, v5
	s_delay_alu instid0(VALU_DEP_3) | instskip(NEXT) | instid1(VALU_DEP_3)
	v_add_co_ci_u32_e32 v3, vcc_lo, s15, v6, vcc_lo
	v_add_co_u32 v4, vcc_lo, s12, v7
	v_add_co_u32 v6, s0, s2, v9
	v_add_co_ci_u32_e32 v5, vcc_lo, s13, v8, vcc_lo
	v_add_co_ci_u32_e64 v7, null, s3, 0, s0
	s_lshl_b64 s[2:3], s[8:9], 2
	s_set_inst_prefetch_distance 0x1
	s_branch .LBB37_4
	.p2align	6
.LBB37_3:                               ;   in Loop: Header=BB37_4 Depth=1
	s_or_b32 exec_lo, exec_lo, s0
	v_add_co_u32 v0, vcc_lo, v0, 64
	v_add_co_ci_u32_e32 v1, vcc_lo, 0, v1, vcc_lo
	v_add_co_u32 v2, vcc_lo, 0x200, v2
	v_add_co_ci_u32_e32 v3, vcc_lo, 0, v3, vcc_lo
	;; [unrolled: 2-line block ×3, first 2 shown]
	v_cmp_le_i64_e32 vcc_lo, s[4:5], v[0:1]
	v_add_co_u32 v6, s0, 0x100, v6
	s_delay_alu instid0(VALU_DEP_1) | instskip(SKIP_1) | instid1(SALU_CYCLE_1)
	v_add_co_ci_u32_e64 v7, s0, 0, v7, s0
	s_or_b32 s10, vcc_lo, s10
	s_and_not1_b32 exec_lo, exec_lo, s10
	s_cbranch_execz .LBB37_6
.LBB37_4:                               ; =>This Inner Loop Header: Depth=1
	global_load_b64 v[8:9], v[2:3], off
	s_waitcnt vmcnt(0)
	v_sub_co_u32 v8, vcc_lo, v8, s1
	v_subrev_co_ci_u32_e32 v9, vcc_lo, 0, v9, vcc_lo
	s_delay_alu instid0(VALU_DEP_1) | instskip(SKIP_1) | instid1(VALU_DEP_1)
	v_cmp_lt_i64_e32 vcc_lo, -1, v[8:9]
	v_cmp_gt_i64_e64 s0, s[6:7], v[8:9]
	s_and_b32 s8, vcc_lo, s0
	s_delay_alu instid0(SALU_CYCLE_1)
	s_and_saveexec_b32 s0, s8
	s_cbranch_execz .LBB37_3
; %bb.5:                                ;   in Loop: Header=BB37_4 Depth=1
	v_mad_u64_u32 v[10:11], null, s2, v8, v[6:7]
	v_mul_lo_u32 v9, s2, v9
	v_mul_lo_u32 v8, s3, v8
	s_delay_alu instid0(VALU_DEP_1)
	v_add3_u32 v11, v8, v11, v9
	global_load_b32 v8, v[10:11], off
	s_waitcnt vmcnt(0)
	global_store_b32 v[4:5], v8, off
	s_branch .LBB37_3
.LBB37_6:
	s_set_inst_prefetch_distance 0x2
	s_nop 0
	s_sendmsg sendmsg(MSG_DEALLOC_VGPRS)
	s_endpgm
	.section	.rodata,"a",@progbits
	.p2align	6, 0x0
	.amdhsa_kernel _ZN9rocsparseL23sddmm_ell_sample_kernelILi16ELi64EflfEEvT2_S1_PKT3_lS1_PS2_PKS1_21rocsparse_index_base_
		.amdhsa_group_segment_fixed_size 0
		.amdhsa_private_segment_fixed_size 0
		.amdhsa_kernarg_size 60
		.amdhsa_user_sgpr_count 15
		.amdhsa_user_sgpr_dispatch_ptr 0
		.amdhsa_user_sgpr_queue_ptr 0
		.amdhsa_user_sgpr_kernarg_segment_ptr 1
		.amdhsa_user_sgpr_dispatch_id 0
		.amdhsa_user_sgpr_private_segment_size 0
		.amdhsa_wavefront_size32 1
		.amdhsa_uses_dynamic_stack 0
		.amdhsa_enable_private_segment 0
		.amdhsa_system_sgpr_workgroup_id_x 1
		.amdhsa_system_sgpr_workgroup_id_y 0
		.amdhsa_system_sgpr_workgroup_id_z 0
		.amdhsa_system_sgpr_workgroup_info 0
		.amdhsa_system_vgpr_workitem_id 0
		.amdhsa_next_free_vgpr 12
		.amdhsa_next_free_sgpr 16
		.amdhsa_reserve_vcc 1
		.amdhsa_float_round_mode_32 0
		.amdhsa_float_round_mode_16_64 0
		.amdhsa_float_denorm_mode_32 3
		.amdhsa_float_denorm_mode_16_64 3
		.amdhsa_dx10_clamp 1
		.amdhsa_ieee_mode 1
		.amdhsa_fp16_overflow 0
		.amdhsa_workgroup_processor_mode 1
		.amdhsa_memory_ordered 1
		.amdhsa_forward_progress 0
		.amdhsa_shared_vgpr_count 0
		.amdhsa_exception_fp_ieee_invalid_op 0
		.amdhsa_exception_fp_denorm_src 0
		.amdhsa_exception_fp_ieee_div_zero 0
		.amdhsa_exception_fp_ieee_overflow 0
		.amdhsa_exception_fp_ieee_underflow 0
		.amdhsa_exception_fp_ieee_inexact 0
		.amdhsa_exception_int_div_zero 0
	.end_amdhsa_kernel
	.section	.text._ZN9rocsparseL23sddmm_ell_sample_kernelILi16ELi64EflfEEvT2_S1_PKT3_lS1_PS2_PKS1_21rocsparse_index_base_,"axG",@progbits,_ZN9rocsparseL23sddmm_ell_sample_kernelILi16ELi64EflfEEvT2_S1_PKT3_lS1_PS2_PKS1_21rocsparse_index_base_,comdat
.Lfunc_end37:
	.size	_ZN9rocsparseL23sddmm_ell_sample_kernelILi16ELi64EflfEEvT2_S1_PKT3_lS1_PS2_PKS1_21rocsparse_index_base_, .Lfunc_end37-_ZN9rocsparseL23sddmm_ell_sample_kernelILi16ELi64EflfEEvT2_S1_PKT3_lS1_PS2_PKS1_21rocsparse_index_base_
                                        ; -- End function
	.section	.AMDGPU.csdata,"",@progbits
; Kernel info:
; codeLenInByte = 448
; NumSgprs: 18
; NumVgprs: 12
; ScratchSize: 0
; MemoryBound: 0
; FloatMode: 240
; IeeeMode: 1
; LDSByteSize: 0 bytes/workgroup (compile time only)
; SGPRBlocks: 2
; VGPRBlocks: 1
; NumSGPRsForWavesPerEU: 18
; NumVGPRsForWavesPerEU: 12
; Occupancy: 16
; WaveLimiterHint : 1
; COMPUTE_PGM_RSRC2:SCRATCH_EN: 0
; COMPUTE_PGM_RSRC2:USER_SGPR: 15
; COMPUTE_PGM_RSRC2:TRAP_HANDLER: 0
; COMPUTE_PGM_RSRC2:TGID_X_EN: 1
; COMPUTE_PGM_RSRC2:TGID_Y_EN: 0
; COMPUTE_PGM_RSRC2:TGID_Z_EN: 0
; COMPUTE_PGM_RSRC2:TIDIG_COMP_CNT: 0
	.section	.text._ZN9rocsparseL16sddmm_ell_kernelILi512ELi8EfllfffEEv20rocsparse_operation_S1_16rocsparse_order_S2_T3_S3_S3_T2_NS_24const_host_device_scalarIT1_EEPKT4_lPKT5_lS7_PT6_PKS3_21rocsparse_index_base_b,"axG",@progbits,_ZN9rocsparseL16sddmm_ell_kernelILi512ELi8EfllfffEEv20rocsparse_operation_S1_16rocsparse_order_S2_T3_S3_S3_T2_NS_24const_host_device_scalarIT1_EEPKT4_lPKT5_lS7_PT6_PKS3_21rocsparse_index_base_b,comdat
	.globl	_ZN9rocsparseL16sddmm_ell_kernelILi512ELi8EfllfffEEv20rocsparse_operation_S1_16rocsparse_order_S2_T3_S3_S3_T2_NS_24const_host_device_scalarIT1_EEPKT4_lPKT5_lS7_PT6_PKS3_21rocsparse_index_base_b ; -- Begin function _ZN9rocsparseL16sddmm_ell_kernelILi512ELi8EfllfffEEv20rocsparse_operation_S1_16rocsparse_order_S2_T3_S3_S3_T2_NS_24const_host_device_scalarIT1_EEPKT4_lPKT5_lS7_PT6_PKS3_21rocsparse_index_base_b
	.p2align	8
	.type	_ZN9rocsparseL16sddmm_ell_kernelILi512ELi8EfllfffEEv20rocsparse_operation_S1_16rocsparse_order_S2_T3_S3_S3_T2_NS_24const_host_device_scalarIT1_EEPKT4_lPKT5_lS7_PT6_PKS3_21rocsparse_index_base_b,@function
_ZN9rocsparseL16sddmm_ell_kernelILi512ELi8EfllfffEEv20rocsparse_operation_S1_16rocsparse_order_S2_T3_S3_S3_T2_NS_24const_host_device_scalarIT1_EEPKT4_lPKT5_lS7_PT6_PKS3_21rocsparse_index_base_b: ; @_ZN9rocsparseL16sddmm_ell_kernelILi512ELi8EfllfffEEv20rocsparse_operation_S1_16rocsparse_order_S2_T3_S3_S3_T2_NS_24const_host_device_scalarIT1_EEPKT4_lPKT5_lS7_PT6_PKS3_21rocsparse_index_base_b
; %bb.0:
	s_clause 0x2
	s_load_b64 s[12:13], s[0:1], 0x70
	s_load_b64 s[16:17], s[0:1], 0x30
	s_load_b128 s[4:7], s[0:1], 0x50
	s_waitcnt lgkmcnt(0)
	s_bitcmp1_b32 s13, 0
	s_cselect_b32 s2, -1, 0
	s_delay_alu instid0(SALU_CYCLE_1)
	s_and_b32 vcc_lo, exec_lo, s2
	s_xor_b32 s2, s2, -1
	s_cbranch_vccnz .LBB38_2
; %bb.1:
	s_load_b32 s16, s[16:17], 0x0
.LBB38_2:
	s_and_not1_b32 vcc_lo, exec_lo, s2
	s_cbranch_vccnz .LBB38_4
; %bb.3:
	s_load_b32 s6, s[6:7], 0x0
.LBB38_4:
	s_waitcnt lgkmcnt(0)
	v_cmp_eq_f32_e64 s2, s16, 0
	v_cmp_eq_f32_e64 s3, s6, 1.0
	s_delay_alu instid0(VALU_DEP_1) | instskip(NEXT) | instid1(SALU_CYCLE_1)
	s_and_b32 s2, s2, s3
	s_and_b32 vcc_lo, exec_lo, s2
	s_cbranch_vccnz .LBB38_39
; %bb.5:
	s_load_b128 s[8:11], s[0:1], 0x20
	v_lshrrev_b32_e32 v11, 3, v0
	v_mov_b32_e32 v2, 0
	s_mov_b32 s2, exec_lo
	s_delay_alu instid0(VALU_DEP_2) | instskip(SKIP_1) | instid1(VALU_DEP_1)
	v_lshl_or_b32 v1, s15, 6, v11
	s_waitcnt lgkmcnt(0)
	v_cmpx_gt_i64_e64 s[10:11], v[1:2]
	s_cbranch_execz .LBB38_39
; %bb.6:
	s_clause 0x1
	s_load_b64 s[14:15], s[0:1], 0x10
	s_load_b64 s[10:11], s[0:1], 0x68
	s_mov_b32 s2, 0
                                        ; implicit-def: $vgpr7_vgpr8
	s_waitcnt lgkmcnt(0)
	s_mov_b32 s3, s15
	s_delay_alu instid0(SALU_CYCLE_1) | instskip(SKIP_1) | instid1(SALU_CYCLE_1)
	s_cmp_lg_u64 s[2:3], 0
	s_cselect_b32 s2, -1, 0
	s_and_saveexec_b32 s3, s2
	s_delay_alu instid0(SALU_CYCLE_1)
	s_xor_b32 s3, exec_lo, s3
	s_cbranch_execz .LBB38_8
; %bb.7:
	s_ashr_i32 s18, s15, 31
	s_delay_alu instid0(SALU_CYCLE_1) | instskip(SKIP_2) | instid1(SALU_CYCLE_1)
	s_add_u32 s20, s14, s18
	s_mov_b32 s19, s18
	s_addc_u32 s21, s15, s18
	s_xor_b64 s[18:19], s[20:21], s[18:19]
	s_delay_alu instid0(SALU_CYCLE_1) | instskip(SKIP_3) | instid1(VALU_DEP_1)
	v_cvt_f32_u32_e32 v3, s18
	v_cvt_f32_u32_e32 v4, s19
	s_sub_u32 s2, 0, s18
	s_subb_u32 s7, 0, s19
	v_fmamk_f32 v3, v4, 0x4f800000, v3
	s_delay_alu instid0(VALU_DEP_1) | instskip(SKIP_2) | instid1(VALU_DEP_1)
	v_rcp_f32_e32 v3, v3
	s_waitcnt_depctr 0xfff
	v_mul_f32_e32 v3, 0x5f7ffffc, v3
	v_mul_f32_e32 v4, 0x2f800000, v3
	s_delay_alu instid0(VALU_DEP_1) | instskip(NEXT) | instid1(VALU_DEP_1)
	v_trunc_f32_e32 v4, v4
	v_fmamk_f32 v3, v4, 0xcf800000, v3
	v_cvt_u32_f32_e32 v4, v4
	s_delay_alu instid0(VALU_DEP_2) | instskip(NEXT) | instid1(VALU_DEP_2)
	v_cvt_u32_f32_e32 v3, v3
	v_mul_lo_u32 v5, s2, v4
	s_delay_alu instid0(VALU_DEP_2) | instskip(SKIP_1) | instid1(VALU_DEP_2)
	v_mul_hi_u32 v6, s2, v3
	v_mul_lo_u32 v7, s7, v3
	v_add_nc_u32_e32 v5, v6, v5
	v_mul_lo_u32 v6, s2, v3
	s_delay_alu instid0(VALU_DEP_2) | instskip(NEXT) | instid1(VALU_DEP_2)
	v_add_nc_u32_e32 v5, v5, v7
	v_mul_hi_u32 v7, v3, v6
	s_delay_alu instid0(VALU_DEP_2)
	v_mul_lo_u32 v8, v3, v5
	v_mul_hi_u32 v9, v3, v5
	v_mul_hi_u32 v10, v4, v6
	v_mul_lo_u32 v6, v4, v6
	v_mul_hi_u32 v12, v4, v5
	v_mul_lo_u32 v5, v4, v5
	v_add_co_u32 v7, vcc_lo, v7, v8
	v_add_co_ci_u32_e32 v8, vcc_lo, 0, v9, vcc_lo
	s_delay_alu instid0(VALU_DEP_2) | instskip(NEXT) | instid1(VALU_DEP_2)
	v_add_co_u32 v6, vcc_lo, v7, v6
	v_add_co_ci_u32_e32 v6, vcc_lo, v8, v10, vcc_lo
	v_add_co_ci_u32_e32 v7, vcc_lo, 0, v12, vcc_lo
	s_delay_alu instid0(VALU_DEP_2) | instskip(NEXT) | instid1(VALU_DEP_2)
	v_add_co_u32 v5, vcc_lo, v6, v5
	v_add_co_ci_u32_e32 v6, vcc_lo, 0, v7, vcc_lo
	s_delay_alu instid0(VALU_DEP_2) | instskip(NEXT) | instid1(VALU_DEP_2)
	v_add_co_u32 v3, vcc_lo, v3, v5
	v_add_co_ci_u32_e32 v4, vcc_lo, v4, v6, vcc_lo
	s_delay_alu instid0(VALU_DEP_2) | instskip(SKIP_1) | instid1(VALU_DEP_3)
	v_mul_hi_u32 v5, s2, v3
	v_mul_lo_u32 v7, s7, v3
	v_mul_lo_u32 v6, s2, v4
	s_delay_alu instid0(VALU_DEP_1) | instskip(SKIP_1) | instid1(VALU_DEP_2)
	v_add_nc_u32_e32 v5, v5, v6
	v_mul_lo_u32 v6, s2, v3
	v_add_nc_u32_e32 v5, v5, v7
	s_delay_alu instid0(VALU_DEP_2) | instskip(NEXT) | instid1(VALU_DEP_2)
	v_mul_hi_u32 v7, v3, v6
	v_mul_lo_u32 v8, v3, v5
	v_mul_hi_u32 v9, v3, v5
	v_mul_hi_u32 v10, v4, v6
	v_mul_lo_u32 v6, v4, v6
	v_mul_hi_u32 v12, v4, v5
	v_mul_lo_u32 v5, v4, v5
	v_add_co_u32 v7, vcc_lo, v7, v8
	v_add_co_ci_u32_e32 v8, vcc_lo, 0, v9, vcc_lo
	s_delay_alu instid0(VALU_DEP_2) | instskip(NEXT) | instid1(VALU_DEP_2)
	v_add_co_u32 v6, vcc_lo, v7, v6
	v_add_co_ci_u32_e32 v6, vcc_lo, v8, v10, vcc_lo
	v_add_co_ci_u32_e32 v7, vcc_lo, 0, v12, vcc_lo
	s_delay_alu instid0(VALU_DEP_2) | instskip(NEXT) | instid1(VALU_DEP_2)
	v_add_co_u32 v5, vcc_lo, v6, v5
	v_add_co_ci_u32_e32 v6, vcc_lo, 0, v7, vcc_lo
	s_delay_alu instid0(VALU_DEP_2) | instskip(NEXT) | instid1(VALU_DEP_2)
	v_add_co_u32 v7, vcc_lo, v3, v5
	v_add_co_ci_u32_e32 v9, vcc_lo, v4, v6, vcc_lo
	s_delay_alu instid0(VALU_DEP_2) | instskip(SKIP_1) | instid1(VALU_DEP_3)
	v_mul_hi_u32 v10, v1, v7
	v_mad_u64_u32 v[5:6], null, 0, v7, 0
	v_mad_u64_u32 v[3:4], null, v1, v9, 0
	;; [unrolled: 1-line block ×3, first 2 shown]
	s_delay_alu instid0(VALU_DEP_2) | instskip(NEXT) | instid1(VALU_DEP_3)
	v_add_co_u32 v3, vcc_lo, v10, v3
	v_add_co_ci_u32_e32 v4, vcc_lo, 0, v4, vcc_lo
	s_delay_alu instid0(VALU_DEP_2) | instskip(NEXT) | instid1(VALU_DEP_2)
	v_add_co_u32 v3, vcc_lo, v3, v5
	v_add_co_ci_u32_e32 v3, vcc_lo, v4, v6, vcc_lo
	v_add_co_ci_u32_e32 v4, vcc_lo, 0, v8, vcc_lo
	s_delay_alu instid0(VALU_DEP_2) | instskip(NEXT) | instid1(VALU_DEP_2)
	v_add_co_u32 v5, vcc_lo, v3, v7
	v_add_co_ci_u32_e32 v6, vcc_lo, 0, v4, vcc_lo
	s_delay_alu instid0(VALU_DEP_2) | instskip(SKIP_1) | instid1(VALU_DEP_3)
	v_mul_lo_u32 v7, s19, v5
	v_mad_u64_u32 v[3:4], null, s18, v5, 0
	v_mul_lo_u32 v5, s18, v6
	s_delay_alu instid0(VALU_DEP_2) | instskip(NEXT) | instid1(VALU_DEP_2)
	v_sub_co_u32 v3, vcc_lo, v1, v3
	v_add3_u32 v4, v4, v5, v7
	s_delay_alu instid0(VALU_DEP_1) | instskip(NEXT) | instid1(VALU_DEP_1)
	v_sub_nc_u32_e32 v5, 0, v4
	v_subrev_co_ci_u32_e64 v5, s2, s19, v5, vcc_lo
	v_sub_co_ci_u32_e32 v4, vcc_lo, 0, v4, vcc_lo
	v_sub_co_u32 v6, vcc_lo, v3, s18
	s_delay_alu instid0(VALU_DEP_1) | instskip(SKIP_3) | instid1(VALU_DEP_3)
	v_subrev_co_ci_u32_e64 v7, s2, 0, v5, vcc_lo
	v_cmp_le_u32_e64 s2, s18, v3
	v_subrev_co_ci_u32_e32 v5, vcc_lo, s19, v5, vcc_lo
	v_cmp_le_u32_e32 vcc_lo, s19, v4
	v_cndmask_b32_e64 v8, 0, -1, s2
	v_cmp_le_u32_e64 s2, s18, v6
	v_cndmask_b32_e64 v12, 0, -1, vcc_lo
	v_cmp_eq_u32_e32 vcc_lo, s19, v7
	s_delay_alu instid0(VALU_DEP_3) | instskip(SKIP_1) | instid1(VALU_DEP_1)
	v_cndmask_b32_e64 v9, 0, -1, s2
	v_cmp_le_u32_e64 s2, s19, v7
	v_cndmask_b32_e64 v10, 0, -1, s2
	v_cmp_eq_u32_e64 s2, s19, v4
	s_delay_alu instid0(VALU_DEP_2) | instskip(SKIP_2) | instid1(VALU_DEP_3)
	v_cndmask_b32_e32 v9, v10, v9, vcc_lo
	v_sub_co_u32 v10, vcc_lo, v6, s18
	v_subrev_co_ci_u32_e32 v5, vcc_lo, 0, v5, vcc_lo
	v_cmp_ne_u32_e32 vcc_lo, 0, v9
	v_cndmask_b32_e64 v8, v12, v8, s2
	s_delay_alu instid0(VALU_DEP_3) | instskip(NEXT) | instid1(VALU_DEP_2)
	v_dual_cndmask_b32 v5, v7, v5 :: v_dual_cndmask_b32 v6, v6, v10
	v_cmp_ne_u32_e32 vcc_lo, 0, v8
	s_delay_alu instid0(VALU_DEP_2) | instskip(NEXT) | instid1(VALU_DEP_1)
	v_dual_cndmask_b32 v3, v3, v6 :: v_dual_cndmask_b32 v4, v4, v5
	v_sub_co_u32 v7, vcc_lo, v3, 0
	s_delay_alu instid0(VALU_DEP_2)
	v_subrev_co_ci_u32_e32 v8, vcc_lo, 0, v4, vcc_lo
.LBB38_8:
	s_and_not1_saveexec_b32 s2, s3
	s_cbranch_execz .LBB38_10
; %bb.9:
	v_cvt_f32_u32_e32 v3, s14
	s_sub_i32 s3, 0, s14
	v_mov_b32_e32 v8, 0
	s_delay_alu instid0(VALU_DEP_2) | instskip(SKIP_2) | instid1(VALU_DEP_1)
	v_rcp_iflag_f32_e32 v3, v3
	s_waitcnt_depctr 0xfff
	v_mul_f32_e32 v3, 0x4f7ffffe, v3
	v_cvt_u32_f32_e32 v3, v3
	s_delay_alu instid0(VALU_DEP_1) | instskip(NEXT) | instid1(VALU_DEP_1)
	v_mul_lo_u32 v4, s3, v3
	v_mul_hi_u32 v4, v3, v4
	s_delay_alu instid0(VALU_DEP_1) | instskip(NEXT) | instid1(VALU_DEP_1)
	v_add_nc_u32_e32 v3, v3, v4
	v_mul_hi_u32 v3, v1, v3
	s_delay_alu instid0(VALU_DEP_1) | instskip(NEXT) | instid1(VALU_DEP_1)
	v_mul_lo_u32 v3, v3, s14
	v_sub_nc_u32_e32 v3, v1, v3
	s_delay_alu instid0(VALU_DEP_1) | instskip(SKIP_1) | instid1(VALU_DEP_2)
	v_subrev_nc_u32_e32 v4, s14, v3
	v_cmp_le_u32_e32 vcc_lo, s14, v3
	v_cndmask_b32_e32 v3, v3, v4, vcc_lo
	s_delay_alu instid0(VALU_DEP_1) | instskip(SKIP_1) | instid1(VALU_DEP_2)
	v_subrev_nc_u32_e32 v4, s14, v3
	v_cmp_le_u32_e32 vcc_lo, s14, v3
	v_cndmask_b32_e32 v7, v3, v4, vcc_lo
.LBB38_10:
	s_or_b32 exec_lo, exec_lo, s2
	v_lshlrev_b64 v[3:4], 3, v[1:2]
	s_delay_alu instid0(VALU_DEP_1) | instskip(NEXT) | instid1(VALU_DEP_2)
	v_add_co_u32 v3, vcc_lo, s10, v3
	v_add_co_ci_u32_e32 v4, vcc_lo, s11, v4, vcc_lo
	global_load_b64 v[3:4], v[3:4], off
	s_waitcnt vmcnt(0)
	v_sub_co_u32 v3, vcc_lo, v3, s12
	v_subrev_co_ci_u32_e32 v4, vcc_lo, 0, v4, vcc_lo
	s_delay_alu instid0(VALU_DEP_1)
	v_cmp_lt_i64_e32 vcc_lo, -1, v[3:4]
	s_and_b32 exec_lo, exec_lo, vcc_lo
	s_cbranch_execz .LBB38_39
; %bb.11:
	s_clause 0x1
	s_load_b128 s[12:15], s[0:1], 0x0
	s_load_b64 s[10:11], s[0:1], 0x40
	s_waitcnt lgkmcnt(0)
	s_cmp_eq_u32 s14, 1
	s_cselect_b32 s7, -1, 0
	s_cmpk_eq_i32 s12, 0x6f
	s_cselect_b32 s17, -1, 0
	s_cmpk_lg_i32 s12, 0x6f
	s_cselect_b32 s2, -1, 0
	s_cmp_lg_u32 s14, 1
	s_cbranch_scc0 .LBB38_15
; %bb.12:
	v_dual_mov_b32 v5, v7 :: v_dual_mov_b32 v6, v8
	s_and_not1_b32 vcc_lo, exec_lo, s17
	s_cbranch_vccnz .LBB38_14
; %bb.13:
	v_mul_lo_u32 v9, v8, s10
	v_mul_lo_u32 v10, v7, s11
	v_mad_u64_u32 v[5:6], null, v7, s10, 0
	s_delay_alu instid0(VALU_DEP_1)
	v_add3_u32 v6, v6, v10, v9
.LBB38_14:
	s_cbranch_execz .LBB38_16
	s_branch .LBB38_19
.LBB38_15:
                                        ; implicit-def: $vgpr5_vgpr6
.LBB38_16:
	s_and_not1_b32 vcc_lo, exec_lo, s2
	s_cbranch_vccnz .LBB38_18
; %bb.17:
	v_mul_lo_u32 v8, v8, s10
	v_mul_lo_u32 v9, v7, s11
	v_mad_u64_u32 v[5:6], null, v7, s10, 0
	s_delay_alu instid0(VALU_DEP_1) | instskip(NEXT) | instid1(VALU_DEP_1)
	v_add3_u32 v6, v6, v9, v8
	v_dual_mov_b32 v8, v6 :: v_dual_mov_b32 v7, v5
.LBB38_18:
	s_delay_alu instid0(VALU_DEP_1)
	v_dual_mov_b32 v5, v7 :: v_dual_mov_b32 v6, v8
.LBB38_19:
	s_cmp_eq_u32 s15, 1
	s_cselect_b32 s14, -1, 0
	s_cmpk_eq_i32 s13, 0x6f
	s_cselect_b32 s18, -1, 0
	s_cmpk_lg_i32 s13, 0x6f
	s_cselect_b32 s2, -1, 0
	s_cmp_lg_u32 s15, 1
	s_cbranch_scc0 .LBB38_23
; %bb.20:
	v_dual_mov_b32 v8, v4 :: v_dual_mov_b32 v7, v3
	s_and_not1_b32 vcc_lo, exec_lo, s2
	s_cbranch_vccnz .LBB38_22
; %bb.21:
	v_mul_lo_u32 v9, v4, s4
	v_mul_lo_u32 v10, v3, s5
	v_mad_u64_u32 v[7:8], null, v3, s4, 0
	s_delay_alu instid0(VALU_DEP_1)
	v_add3_u32 v8, v8, v10, v9
.LBB38_22:
	s_cbranch_execz .LBB38_24
	s_branch .LBB38_27
.LBB38_23:
                                        ; implicit-def: $vgpr7_vgpr8
.LBB38_24:
	s_and_not1_b32 vcc_lo, exec_lo, s18
	s_cbranch_vccnz .LBB38_26
; %bb.25:
	v_mul_lo_u32 v4, v4, s4
	v_mul_lo_u32 v9, v3, s5
	v_mad_u64_u32 v[7:8], null, v3, s4, 0
	s_delay_alu instid0(VALU_DEP_1) | instskip(NEXT) | instid1(VALU_DEP_1)
	v_add3_u32 v8, v8, v9, v4
	v_dual_mov_b32 v3, v7 :: v_dual_mov_b32 v4, v8
.LBB38_26:
	s_delay_alu instid0(VALU_DEP_1)
	v_dual_mov_b32 v8, v4 :: v_dual_mov_b32 v7, v3
.LBB38_27:
	s_load_b64 s[2:3], s[0:1], 0x60
	v_dual_mov_b32 v4, 0 :: v_dual_and_b32 v3, 7, v0
	s_mov_b32 s12, exec_lo
	s_delay_alu instid0(VALU_DEP_1)
	v_cmpx_gt_i64_e64 s[8:9], v[3:4]
	s_cbranch_execz .LBB38_31
; %bb.28:
	s_xor_b32 s7, s17, s7
	v_lshlrev_b64 v[7:8], 2, v[7:8]
	s_and_b32 s7, s7, exec_lo
	s_cselect_b32 s11, 0, s11
	s_cselect_b32 s10, 1, s10
	s_xor_b32 s7, s18, s14
	v_mad_u64_u32 v[9:10], null, s10, v3, 0
	s_and_b32 s7, s7, exec_lo
	s_cselect_b32 s4, s4, 1
	s_cselect_b32 s5, s5, 0
	v_mad_u64_u32 v[12:13], null, s4, v3, 0
	s_load_b64 s[14:15], s[0:1], 0x38
	s_delay_alu instid0(VALU_DEP_2) | instskip(SKIP_1) | instid1(VALU_DEP_2)
	v_mov_b32_e32 v0, v10
	s_load_b64 s[0:1], s[0:1], 0x48
	v_mov_b32_e32 v10, v13
	s_delay_alu instid0(VALU_DEP_2) | instskip(SKIP_2) | instid1(VALU_DEP_3)
	v_mad_u64_u32 v[13:14], null, s11, v3, v[0:1]
	v_mov_b32_e32 v0, 0
	s_lshl_b64 s[10:11], s[10:11], 5
	v_mad_u64_u32 v[14:15], null, s5, v3, v[10:11]
	v_lshlrev_b64 v[15:16], 2, v[5:6]
	v_mov_b32_e32 v6, v4
	v_dual_mov_b32 v10, v13 :: v_dual_mov_b32 v5, v3
	s_lshl_b64 s[4:5], s[4:5], 5
	s_delay_alu instid0(VALU_DEP_4) | instskip(NEXT) | instid1(VALU_DEP_2)
	v_mov_b32_e32 v13, v14
	v_lshlrev_b64 v[9:10], 2, v[9:10]
	s_delay_alu instid0(VALU_DEP_2) | instskip(NEXT) | instid1(VALU_DEP_2)
	v_lshlrev_b64 v[12:13], 2, v[12:13]
	v_add_co_u32 v4, vcc_lo, v9, v15
	s_delay_alu instid0(VALU_DEP_3) | instskip(NEXT) | instid1(VALU_DEP_3)
	v_add_co_ci_u32_e32 v9, vcc_lo, v10, v16, vcc_lo
	v_add_co_u32 v10, vcc_lo, v12, v7
	s_delay_alu instid0(VALU_DEP_4)
	v_add_co_ci_u32_e32 v12, vcc_lo, v13, v8, vcc_lo
	s_waitcnt lgkmcnt(0)
	v_add_co_u32 v7, vcc_lo, s14, v4
	v_add_co_ci_u32_e32 v8, vcc_lo, s15, v9, vcc_lo
	v_add_co_u32 v9, vcc_lo, s0, v10
	v_add_co_ci_u32_e32 v10, vcc_lo, s1, v12, vcc_lo
	v_mov_b32_e32 v4, v0
	s_mov_b32 s1, 0
	.p2align	6
.LBB38_29:                              ; =>This Inner Loop Header: Depth=1
	global_load_b32 v0, v[7:8], off
	global_load_b32 v12, v[9:10], off
	v_add_co_u32 v5, vcc_lo, v5, 8
	v_add_co_ci_u32_e32 v6, vcc_lo, 0, v6, vcc_lo
	v_add_co_u32 v9, vcc_lo, v9, s4
	v_add_co_ci_u32_e32 v10, vcc_lo, s5, v10, vcc_lo
	s_delay_alu instid0(VALU_DEP_3) | instskip(SKIP_1) | instid1(VALU_DEP_1)
	v_cmp_le_i64_e32 vcc_lo, s[8:9], v[5:6]
	v_add_co_u32 v7, s0, v7, s10
	v_add_co_ci_u32_e64 v8, s0, s11, v8, s0
	s_or_b32 s1, vcc_lo, s1
	s_waitcnt vmcnt(0)
	v_fmac_f32_e32 v4, v0, v12
	s_and_not1_b32 exec_lo, exec_lo, s1
	s_cbranch_execnz .LBB38_29
; %bb.30:
	s_or_b32 exec_lo, exec_lo, s1
.LBB38_31:
	s_delay_alu instid0(SALU_CYCLE_1) | instskip(SKIP_2) | instid1(VALU_DEP_1)
	s_or_b32 exec_lo, exec_lo, s12
	v_lshlrev_b32_e32 v0, 2, v3
	s_mov_b32 s0, exec_lo
	v_lshl_or_b32 v0, v11, 5, v0
	ds_store_b32 v0, v4
	s_waitcnt lgkmcnt(0)
	s_barrier
	buffer_gl0_inv
	v_cmpx_gt_u32_e32 4, v3
	s_cbranch_execz .LBB38_33
; %bb.32:
	ds_load_2addr_b32 v[4:5], v0 offset1:4
	s_waitcnt lgkmcnt(0)
	v_add_f32_e32 v4, v5, v4
	ds_store_b32 v0, v4
.LBB38_33:
	s_or_b32 exec_lo, exec_lo, s0
	s_delay_alu instid0(SALU_CYCLE_1)
	s_mov_b32 s0, exec_lo
	s_waitcnt lgkmcnt(0)
	s_barrier
	buffer_gl0_inv
	v_cmpx_gt_u32_e32 2, v3
	s_cbranch_execz .LBB38_35
; %bb.34:
	ds_load_2addr_b32 v[4:5], v0 offset1:2
	s_waitcnt lgkmcnt(0)
	v_add_f32_e32 v4, v5, v4
	ds_store_b32 v0, v4
.LBB38_35:
	s_or_b32 exec_lo, exec_lo, s0
	v_cmp_eq_u32_e32 vcc_lo, 0, v3
	v_lshlrev_b32_e32 v3, 5, v11
	s_waitcnt lgkmcnt(0)
	s_barrier
	buffer_gl0_inv
	s_and_saveexec_b32 s0, vcc_lo
	s_cbranch_execz .LBB38_37
; %bb.36:
	ds_load_b32 v4, v3 offset:4
	ds_load_b32 v5, v0
	s_waitcnt lgkmcnt(0)
	v_add_f32_e32 v4, v4, v5
	ds_store_b32 v0, v4
.LBB38_37:
	s_or_b32 exec_lo, exec_lo, s0
	s_waitcnt lgkmcnt(0)
	s_barrier
	buffer_gl0_inv
	s_and_b32 exec_lo, exec_lo, vcc_lo
	s_cbranch_execz .LBB38_39
; %bb.38:
	v_lshlrev_b64 v[0:1], 2, v[1:2]
	ds_load_b32 v3, v3
	v_add_co_u32 v0, vcc_lo, s2, v0
	v_add_co_ci_u32_e32 v1, vcc_lo, s3, v1, vcc_lo
	global_load_b32 v2, v[0:1], off
	s_waitcnt lgkmcnt(0)
	v_mul_f32_e32 v3, s16, v3
	s_waitcnt vmcnt(0)
	s_delay_alu instid0(VALU_DEP_1)
	v_fmac_f32_e32 v3, s6, v2
	global_store_b32 v[0:1], v3, off
.LBB38_39:
	s_nop 0
	s_sendmsg sendmsg(MSG_DEALLOC_VGPRS)
	s_endpgm
	.section	.rodata,"a",@progbits
	.p2align	6, 0x0
	.amdhsa_kernel _ZN9rocsparseL16sddmm_ell_kernelILi512ELi8EfllfffEEv20rocsparse_operation_S1_16rocsparse_order_S2_T3_S3_S3_T2_NS_24const_host_device_scalarIT1_EEPKT4_lPKT5_lS7_PT6_PKS3_21rocsparse_index_base_b
		.amdhsa_group_segment_fixed_size 2048
		.amdhsa_private_segment_fixed_size 0
		.amdhsa_kernarg_size 120
		.amdhsa_user_sgpr_count 15
		.amdhsa_user_sgpr_dispatch_ptr 0
		.amdhsa_user_sgpr_queue_ptr 0
		.amdhsa_user_sgpr_kernarg_segment_ptr 1
		.amdhsa_user_sgpr_dispatch_id 0
		.amdhsa_user_sgpr_private_segment_size 0
		.amdhsa_wavefront_size32 1
		.amdhsa_uses_dynamic_stack 0
		.amdhsa_enable_private_segment 0
		.amdhsa_system_sgpr_workgroup_id_x 1
		.amdhsa_system_sgpr_workgroup_id_y 0
		.amdhsa_system_sgpr_workgroup_id_z 0
		.amdhsa_system_sgpr_workgroup_info 0
		.amdhsa_system_vgpr_workitem_id 0
		.amdhsa_next_free_vgpr 17
		.amdhsa_next_free_sgpr 22
		.amdhsa_reserve_vcc 1
		.amdhsa_float_round_mode_32 0
		.amdhsa_float_round_mode_16_64 0
		.amdhsa_float_denorm_mode_32 3
		.amdhsa_float_denorm_mode_16_64 3
		.amdhsa_dx10_clamp 1
		.amdhsa_ieee_mode 1
		.amdhsa_fp16_overflow 0
		.amdhsa_workgroup_processor_mode 1
		.amdhsa_memory_ordered 1
		.amdhsa_forward_progress 0
		.amdhsa_shared_vgpr_count 0
		.amdhsa_exception_fp_ieee_invalid_op 0
		.amdhsa_exception_fp_denorm_src 0
		.amdhsa_exception_fp_ieee_div_zero 0
		.amdhsa_exception_fp_ieee_overflow 0
		.amdhsa_exception_fp_ieee_underflow 0
		.amdhsa_exception_fp_ieee_inexact 0
		.amdhsa_exception_int_div_zero 0
	.end_amdhsa_kernel
	.section	.text._ZN9rocsparseL16sddmm_ell_kernelILi512ELi8EfllfffEEv20rocsparse_operation_S1_16rocsparse_order_S2_T3_S3_S3_T2_NS_24const_host_device_scalarIT1_EEPKT4_lPKT5_lS7_PT6_PKS3_21rocsparse_index_base_b,"axG",@progbits,_ZN9rocsparseL16sddmm_ell_kernelILi512ELi8EfllfffEEv20rocsparse_operation_S1_16rocsparse_order_S2_T3_S3_S3_T2_NS_24const_host_device_scalarIT1_EEPKT4_lPKT5_lS7_PT6_PKS3_21rocsparse_index_base_b,comdat
.Lfunc_end38:
	.size	_ZN9rocsparseL16sddmm_ell_kernelILi512ELi8EfllfffEEv20rocsparse_operation_S1_16rocsparse_order_S2_T3_S3_S3_T2_NS_24const_host_device_scalarIT1_EEPKT4_lPKT5_lS7_PT6_PKS3_21rocsparse_index_base_b, .Lfunc_end38-_ZN9rocsparseL16sddmm_ell_kernelILi512ELi8EfllfffEEv20rocsparse_operation_S1_16rocsparse_order_S2_T3_S3_S3_T2_NS_24const_host_device_scalarIT1_EEPKT4_lPKT5_lS7_PT6_PKS3_21rocsparse_index_base_b
                                        ; -- End function
	.section	.AMDGPU.csdata,"",@progbits
; Kernel info:
; codeLenInByte = 2208
; NumSgprs: 24
; NumVgprs: 17
; ScratchSize: 0
; MemoryBound: 0
; FloatMode: 240
; IeeeMode: 1
; LDSByteSize: 2048 bytes/workgroup (compile time only)
; SGPRBlocks: 2
; VGPRBlocks: 2
; NumSGPRsForWavesPerEU: 24
; NumVGPRsForWavesPerEU: 17
; Occupancy: 16
; WaveLimiterHint : 0
; COMPUTE_PGM_RSRC2:SCRATCH_EN: 0
; COMPUTE_PGM_RSRC2:USER_SGPR: 15
; COMPUTE_PGM_RSRC2:TRAP_HANDLER: 0
; COMPUTE_PGM_RSRC2:TGID_X_EN: 1
; COMPUTE_PGM_RSRC2:TGID_Y_EN: 0
; COMPUTE_PGM_RSRC2:TGID_Z_EN: 0
; COMPUTE_PGM_RSRC2:TIDIG_COMP_CNT: 0
	.section	.text._ZN9rocsparseL16sddmm_ell_kernelILi512ELi4EfllfffEEv20rocsparse_operation_S1_16rocsparse_order_S2_T3_S3_S3_T2_NS_24const_host_device_scalarIT1_EEPKT4_lPKT5_lS7_PT6_PKS3_21rocsparse_index_base_b,"axG",@progbits,_ZN9rocsparseL16sddmm_ell_kernelILi512ELi4EfllfffEEv20rocsparse_operation_S1_16rocsparse_order_S2_T3_S3_S3_T2_NS_24const_host_device_scalarIT1_EEPKT4_lPKT5_lS7_PT6_PKS3_21rocsparse_index_base_b,comdat
	.globl	_ZN9rocsparseL16sddmm_ell_kernelILi512ELi4EfllfffEEv20rocsparse_operation_S1_16rocsparse_order_S2_T3_S3_S3_T2_NS_24const_host_device_scalarIT1_EEPKT4_lPKT5_lS7_PT6_PKS3_21rocsparse_index_base_b ; -- Begin function _ZN9rocsparseL16sddmm_ell_kernelILi512ELi4EfllfffEEv20rocsparse_operation_S1_16rocsparse_order_S2_T3_S3_S3_T2_NS_24const_host_device_scalarIT1_EEPKT4_lPKT5_lS7_PT6_PKS3_21rocsparse_index_base_b
	.p2align	8
	.type	_ZN9rocsparseL16sddmm_ell_kernelILi512ELi4EfllfffEEv20rocsparse_operation_S1_16rocsparse_order_S2_T3_S3_S3_T2_NS_24const_host_device_scalarIT1_EEPKT4_lPKT5_lS7_PT6_PKS3_21rocsparse_index_base_b,@function
_ZN9rocsparseL16sddmm_ell_kernelILi512ELi4EfllfffEEv20rocsparse_operation_S1_16rocsparse_order_S2_T3_S3_S3_T2_NS_24const_host_device_scalarIT1_EEPKT4_lPKT5_lS7_PT6_PKS3_21rocsparse_index_base_b: ; @_ZN9rocsparseL16sddmm_ell_kernelILi512ELi4EfllfffEEv20rocsparse_operation_S1_16rocsparse_order_S2_T3_S3_S3_T2_NS_24const_host_device_scalarIT1_EEPKT4_lPKT5_lS7_PT6_PKS3_21rocsparse_index_base_b
; %bb.0:
	s_clause 0x2
	s_load_b64 s[12:13], s[0:1], 0x70
	s_load_b64 s[16:17], s[0:1], 0x30
	s_load_b128 s[4:7], s[0:1], 0x50
	s_waitcnt lgkmcnt(0)
	s_bitcmp1_b32 s13, 0
	s_cselect_b32 s2, -1, 0
	s_delay_alu instid0(SALU_CYCLE_1)
	s_and_b32 vcc_lo, exec_lo, s2
	s_xor_b32 s2, s2, -1
	s_cbranch_vccnz .LBB39_2
; %bb.1:
	s_load_b32 s16, s[16:17], 0x0
.LBB39_2:
	s_and_not1_b32 vcc_lo, exec_lo, s2
	s_cbranch_vccnz .LBB39_4
; %bb.3:
	s_load_b32 s6, s[6:7], 0x0
.LBB39_4:
	s_waitcnt lgkmcnt(0)
	v_cmp_eq_f32_e64 s2, s16, 0
	v_cmp_eq_f32_e64 s3, s6, 1.0
	s_delay_alu instid0(VALU_DEP_1) | instskip(NEXT) | instid1(SALU_CYCLE_1)
	s_and_b32 s2, s2, s3
	s_and_b32 vcc_lo, exec_lo, s2
	s_cbranch_vccnz .LBB39_37
; %bb.5:
	s_load_b128 s[8:11], s[0:1], 0x20
	v_lshrrev_b32_e32 v11, 2, v0
	v_mov_b32_e32 v2, 0
	s_mov_b32 s2, exec_lo
	s_delay_alu instid0(VALU_DEP_2) | instskip(SKIP_1) | instid1(VALU_DEP_1)
	v_lshl_or_b32 v1, s15, 7, v11
	s_waitcnt lgkmcnt(0)
	v_cmpx_gt_i64_e64 s[10:11], v[1:2]
	s_cbranch_execz .LBB39_37
; %bb.6:
	s_clause 0x1
	s_load_b64 s[14:15], s[0:1], 0x10
	s_load_b64 s[10:11], s[0:1], 0x68
	s_mov_b32 s2, 0
                                        ; implicit-def: $vgpr7_vgpr8
	s_waitcnt lgkmcnt(0)
	s_mov_b32 s3, s15
	s_delay_alu instid0(SALU_CYCLE_1) | instskip(SKIP_1) | instid1(SALU_CYCLE_1)
	s_cmp_lg_u64 s[2:3], 0
	s_cselect_b32 s2, -1, 0
	s_and_saveexec_b32 s3, s2
	s_delay_alu instid0(SALU_CYCLE_1)
	s_xor_b32 s3, exec_lo, s3
	s_cbranch_execz .LBB39_8
; %bb.7:
	s_ashr_i32 s18, s15, 31
	s_delay_alu instid0(SALU_CYCLE_1) | instskip(SKIP_2) | instid1(SALU_CYCLE_1)
	s_add_u32 s20, s14, s18
	s_mov_b32 s19, s18
	s_addc_u32 s21, s15, s18
	s_xor_b64 s[18:19], s[20:21], s[18:19]
	s_delay_alu instid0(SALU_CYCLE_1) | instskip(SKIP_3) | instid1(VALU_DEP_1)
	v_cvt_f32_u32_e32 v3, s18
	v_cvt_f32_u32_e32 v4, s19
	s_sub_u32 s2, 0, s18
	s_subb_u32 s7, 0, s19
	v_fmamk_f32 v3, v4, 0x4f800000, v3
	s_delay_alu instid0(VALU_DEP_1) | instskip(SKIP_2) | instid1(VALU_DEP_1)
	v_rcp_f32_e32 v3, v3
	s_waitcnt_depctr 0xfff
	v_mul_f32_e32 v3, 0x5f7ffffc, v3
	v_mul_f32_e32 v4, 0x2f800000, v3
	s_delay_alu instid0(VALU_DEP_1) | instskip(NEXT) | instid1(VALU_DEP_1)
	v_trunc_f32_e32 v4, v4
	v_fmamk_f32 v3, v4, 0xcf800000, v3
	v_cvt_u32_f32_e32 v4, v4
	s_delay_alu instid0(VALU_DEP_2) | instskip(NEXT) | instid1(VALU_DEP_2)
	v_cvt_u32_f32_e32 v3, v3
	v_mul_lo_u32 v5, s2, v4
	s_delay_alu instid0(VALU_DEP_2) | instskip(SKIP_1) | instid1(VALU_DEP_2)
	v_mul_hi_u32 v6, s2, v3
	v_mul_lo_u32 v7, s7, v3
	v_add_nc_u32_e32 v5, v6, v5
	v_mul_lo_u32 v6, s2, v3
	s_delay_alu instid0(VALU_DEP_2) | instskip(NEXT) | instid1(VALU_DEP_2)
	v_add_nc_u32_e32 v5, v5, v7
	v_mul_hi_u32 v7, v3, v6
	s_delay_alu instid0(VALU_DEP_2)
	v_mul_lo_u32 v8, v3, v5
	v_mul_hi_u32 v9, v3, v5
	v_mul_hi_u32 v10, v4, v6
	v_mul_lo_u32 v6, v4, v6
	v_mul_hi_u32 v12, v4, v5
	v_mul_lo_u32 v5, v4, v5
	v_add_co_u32 v7, vcc_lo, v7, v8
	v_add_co_ci_u32_e32 v8, vcc_lo, 0, v9, vcc_lo
	s_delay_alu instid0(VALU_DEP_2) | instskip(NEXT) | instid1(VALU_DEP_2)
	v_add_co_u32 v6, vcc_lo, v7, v6
	v_add_co_ci_u32_e32 v6, vcc_lo, v8, v10, vcc_lo
	v_add_co_ci_u32_e32 v7, vcc_lo, 0, v12, vcc_lo
	s_delay_alu instid0(VALU_DEP_2) | instskip(NEXT) | instid1(VALU_DEP_2)
	v_add_co_u32 v5, vcc_lo, v6, v5
	v_add_co_ci_u32_e32 v6, vcc_lo, 0, v7, vcc_lo
	s_delay_alu instid0(VALU_DEP_2) | instskip(NEXT) | instid1(VALU_DEP_2)
	v_add_co_u32 v3, vcc_lo, v3, v5
	v_add_co_ci_u32_e32 v4, vcc_lo, v4, v6, vcc_lo
	s_delay_alu instid0(VALU_DEP_2) | instskip(SKIP_1) | instid1(VALU_DEP_3)
	v_mul_hi_u32 v5, s2, v3
	v_mul_lo_u32 v7, s7, v3
	v_mul_lo_u32 v6, s2, v4
	s_delay_alu instid0(VALU_DEP_1) | instskip(SKIP_1) | instid1(VALU_DEP_2)
	v_add_nc_u32_e32 v5, v5, v6
	v_mul_lo_u32 v6, s2, v3
	v_add_nc_u32_e32 v5, v5, v7
	s_delay_alu instid0(VALU_DEP_2) | instskip(NEXT) | instid1(VALU_DEP_2)
	v_mul_hi_u32 v7, v3, v6
	v_mul_lo_u32 v8, v3, v5
	v_mul_hi_u32 v9, v3, v5
	v_mul_hi_u32 v10, v4, v6
	v_mul_lo_u32 v6, v4, v6
	v_mul_hi_u32 v12, v4, v5
	v_mul_lo_u32 v5, v4, v5
	v_add_co_u32 v7, vcc_lo, v7, v8
	v_add_co_ci_u32_e32 v8, vcc_lo, 0, v9, vcc_lo
	s_delay_alu instid0(VALU_DEP_2) | instskip(NEXT) | instid1(VALU_DEP_2)
	v_add_co_u32 v6, vcc_lo, v7, v6
	v_add_co_ci_u32_e32 v6, vcc_lo, v8, v10, vcc_lo
	v_add_co_ci_u32_e32 v7, vcc_lo, 0, v12, vcc_lo
	s_delay_alu instid0(VALU_DEP_2) | instskip(NEXT) | instid1(VALU_DEP_2)
	v_add_co_u32 v5, vcc_lo, v6, v5
	v_add_co_ci_u32_e32 v6, vcc_lo, 0, v7, vcc_lo
	s_delay_alu instid0(VALU_DEP_2) | instskip(NEXT) | instid1(VALU_DEP_2)
	v_add_co_u32 v7, vcc_lo, v3, v5
	v_add_co_ci_u32_e32 v9, vcc_lo, v4, v6, vcc_lo
	s_delay_alu instid0(VALU_DEP_2) | instskip(SKIP_1) | instid1(VALU_DEP_3)
	v_mul_hi_u32 v10, v1, v7
	v_mad_u64_u32 v[5:6], null, 0, v7, 0
	v_mad_u64_u32 v[3:4], null, v1, v9, 0
	;; [unrolled: 1-line block ×3, first 2 shown]
	s_delay_alu instid0(VALU_DEP_2) | instskip(NEXT) | instid1(VALU_DEP_3)
	v_add_co_u32 v3, vcc_lo, v10, v3
	v_add_co_ci_u32_e32 v4, vcc_lo, 0, v4, vcc_lo
	s_delay_alu instid0(VALU_DEP_2) | instskip(NEXT) | instid1(VALU_DEP_2)
	v_add_co_u32 v3, vcc_lo, v3, v5
	v_add_co_ci_u32_e32 v3, vcc_lo, v4, v6, vcc_lo
	v_add_co_ci_u32_e32 v4, vcc_lo, 0, v8, vcc_lo
	s_delay_alu instid0(VALU_DEP_2) | instskip(NEXT) | instid1(VALU_DEP_2)
	v_add_co_u32 v5, vcc_lo, v3, v7
	v_add_co_ci_u32_e32 v6, vcc_lo, 0, v4, vcc_lo
	s_delay_alu instid0(VALU_DEP_2) | instskip(SKIP_1) | instid1(VALU_DEP_3)
	v_mul_lo_u32 v7, s19, v5
	v_mad_u64_u32 v[3:4], null, s18, v5, 0
	v_mul_lo_u32 v5, s18, v6
	s_delay_alu instid0(VALU_DEP_2) | instskip(NEXT) | instid1(VALU_DEP_2)
	v_sub_co_u32 v3, vcc_lo, v1, v3
	v_add3_u32 v4, v4, v5, v7
	s_delay_alu instid0(VALU_DEP_1) | instskip(NEXT) | instid1(VALU_DEP_1)
	v_sub_nc_u32_e32 v5, 0, v4
	v_subrev_co_ci_u32_e64 v5, s2, s19, v5, vcc_lo
	v_sub_co_ci_u32_e32 v4, vcc_lo, 0, v4, vcc_lo
	v_sub_co_u32 v6, vcc_lo, v3, s18
	s_delay_alu instid0(VALU_DEP_1) | instskip(SKIP_3) | instid1(VALU_DEP_3)
	v_subrev_co_ci_u32_e64 v7, s2, 0, v5, vcc_lo
	v_cmp_le_u32_e64 s2, s18, v3
	v_subrev_co_ci_u32_e32 v5, vcc_lo, s19, v5, vcc_lo
	v_cmp_le_u32_e32 vcc_lo, s19, v4
	v_cndmask_b32_e64 v8, 0, -1, s2
	v_cmp_le_u32_e64 s2, s18, v6
	v_cndmask_b32_e64 v12, 0, -1, vcc_lo
	v_cmp_eq_u32_e32 vcc_lo, s19, v7
	s_delay_alu instid0(VALU_DEP_3) | instskip(SKIP_1) | instid1(VALU_DEP_1)
	v_cndmask_b32_e64 v9, 0, -1, s2
	v_cmp_le_u32_e64 s2, s19, v7
	v_cndmask_b32_e64 v10, 0, -1, s2
	v_cmp_eq_u32_e64 s2, s19, v4
	s_delay_alu instid0(VALU_DEP_2) | instskip(SKIP_2) | instid1(VALU_DEP_3)
	v_cndmask_b32_e32 v9, v10, v9, vcc_lo
	v_sub_co_u32 v10, vcc_lo, v6, s18
	v_subrev_co_ci_u32_e32 v5, vcc_lo, 0, v5, vcc_lo
	v_cmp_ne_u32_e32 vcc_lo, 0, v9
	v_cndmask_b32_e64 v8, v12, v8, s2
	s_delay_alu instid0(VALU_DEP_3) | instskip(NEXT) | instid1(VALU_DEP_2)
	v_dual_cndmask_b32 v5, v7, v5 :: v_dual_cndmask_b32 v6, v6, v10
	v_cmp_ne_u32_e32 vcc_lo, 0, v8
	s_delay_alu instid0(VALU_DEP_2) | instskip(NEXT) | instid1(VALU_DEP_1)
	v_dual_cndmask_b32 v3, v3, v6 :: v_dual_cndmask_b32 v4, v4, v5
	v_sub_co_u32 v7, vcc_lo, v3, 0
	s_delay_alu instid0(VALU_DEP_2)
	v_subrev_co_ci_u32_e32 v8, vcc_lo, 0, v4, vcc_lo
.LBB39_8:
	s_and_not1_saveexec_b32 s2, s3
	s_cbranch_execz .LBB39_10
; %bb.9:
	v_cvt_f32_u32_e32 v3, s14
	s_sub_i32 s3, 0, s14
	v_mov_b32_e32 v8, 0
	s_delay_alu instid0(VALU_DEP_2) | instskip(SKIP_2) | instid1(VALU_DEP_1)
	v_rcp_iflag_f32_e32 v3, v3
	s_waitcnt_depctr 0xfff
	v_mul_f32_e32 v3, 0x4f7ffffe, v3
	v_cvt_u32_f32_e32 v3, v3
	s_delay_alu instid0(VALU_DEP_1) | instskip(NEXT) | instid1(VALU_DEP_1)
	v_mul_lo_u32 v4, s3, v3
	v_mul_hi_u32 v4, v3, v4
	s_delay_alu instid0(VALU_DEP_1) | instskip(NEXT) | instid1(VALU_DEP_1)
	v_add_nc_u32_e32 v3, v3, v4
	v_mul_hi_u32 v3, v1, v3
	s_delay_alu instid0(VALU_DEP_1) | instskip(NEXT) | instid1(VALU_DEP_1)
	v_mul_lo_u32 v3, v3, s14
	v_sub_nc_u32_e32 v3, v1, v3
	s_delay_alu instid0(VALU_DEP_1) | instskip(SKIP_1) | instid1(VALU_DEP_2)
	v_subrev_nc_u32_e32 v4, s14, v3
	v_cmp_le_u32_e32 vcc_lo, s14, v3
	v_cndmask_b32_e32 v3, v3, v4, vcc_lo
	s_delay_alu instid0(VALU_DEP_1) | instskip(SKIP_1) | instid1(VALU_DEP_2)
	v_subrev_nc_u32_e32 v4, s14, v3
	v_cmp_le_u32_e32 vcc_lo, s14, v3
	v_cndmask_b32_e32 v7, v3, v4, vcc_lo
.LBB39_10:
	s_or_b32 exec_lo, exec_lo, s2
	v_lshlrev_b64 v[3:4], 3, v[1:2]
	s_delay_alu instid0(VALU_DEP_1) | instskip(NEXT) | instid1(VALU_DEP_2)
	v_add_co_u32 v3, vcc_lo, s10, v3
	v_add_co_ci_u32_e32 v4, vcc_lo, s11, v4, vcc_lo
	global_load_b64 v[3:4], v[3:4], off
	s_waitcnt vmcnt(0)
	v_sub_co_u32 v3, vcc_lo, v3, s12
	v_subrev_co_ci_u32_e32 v4, vcc_lo, 0, v4, vcc_lo
	s_delay_alu instid0(VALU_DEP_1)
	v_cmp_lt_i64_e32 vcc_lo, -1, v[3:4]
	s_and_b32 exec_lo, exec_lo, vcc_lo
	s_cbranch_execz .LBB39_37
; %bb.11:
	s_clause 0x1
	s_load_b128 s[12:15], s[0:1], 0x0
	s_load_b64 s[10:11], s[0:1], 0x40
	s_waitcnt lgkmcnt(0)
	s_cmp_eq_u32 s14, 1
	s_cselect_b32 s7, -1, 0
	s_cmpk_eq_i32 s12, 0x6f
	s_cselect_b32 s17, -1, 0
	s_cmpk_lg_i32 s12, 0x6f
	s_cselect_b32 s2, -1, 0
	s_cmp_lg_u32 s14, 1
	s_cbranch_scc0 .LBB39_15
; %bb.12:
	v_dual_mov_b32 v5, v7 :: v_dual_mov_b32 v6, v8
	s_and_not1_b32 vcc_lo, exec_lo, s17
	s_cbranch_vccnz .LBB39_14
; %bb.13:
	v_mul_lo_u32 v9, v8, s10
	v_mul_lo_u32 v10, v7, s11
	v_mad_u64_u32 v[5:6], null, v7, s10, 0
	s_delay_alu instid0(VALU_DEP_1)
	v_add3_u32 v6, v6, v10, v9
.LBB39_14:
	s_cbranch_execz .LBB39_16
	s_branch .LBB39_19
.LBB39_15:
                                        ; implicit-def: $vgpr5_vgpr6
.LBB39_16:
	s_and_not1_b32 vcc_lo, exec_lo, s2
	s_cbranch_vccnz .LBB39_18
; %bb.17:
	v_mul_lo_u32 v8, v8, s10
	v_mul_lo_u32 v9, v7, s11
	v_mad_u64_u32 v[5:6], null, v7, s10, 0
	s_delay_alu instid0(VALU_DEP_1) | instskip(NEXT) | instid1(VALU_DEP_1)
	v_add3_u32 v6, v6, v9, v8
	v_dual_mov_b32 v8, v6 :: v_dual_mov_b32 v7, v5
.LBB39_18:
	s_delay_alu instid0(VALU_DEP_1)
	v_dual_mov_b32 v5, v7 :: v_dual_mov_b32 v6, v8
.LBB39_19:
	s_cmp_eq_u32 s15, 1
	s_cselect_b32 s14, -1, 0
	s_cmpk_eq_i32 s13, 0x6f
	s_cselect_b32 s18, -1, 0
	s_cmpk_lg_i32 s13, 0x6f
	s_cselect_b32 s2, -1, 0
	s_cmp_lg_u32 s15, 1
	s_cbranch_scc0 .LBB39_23
; %bb.20:
	v_dual_mov_b32 v8, v4 :: v_dual_mov_b32 v7, v3
	s_and_not1_b32 vcc_lo, exec_lo, s2
	s_cbranch_vccnz .LBB39_22
; %bb.21:
	v_mul_lo_u32 v9, v4, s4
	v_mul_lo_u32 v10, v3, s5
	v_mad_u64_u32 v[7:8], null, v3, s4, 0
	s_delay_alu instid0(VALU_DEP_1)
	v_add3_u32 v8, v8, v10, v9
.LBB39_22:
	s_cbranch_execz .LBB39_24
	s_branch .LBB39_27
.LBB39_23:
                                        ; implicit-def: $vgpr7_vgpr8
.LBB39_24:
	s_and_not1_b32 vcc_lo, exec_lo, s18
	s_cbranch_vccnz .LBB39_26
; %bb.25:
	v_mul_lo_u32 v4, v4, s4
	v_mul_lo_u32 v9, v3, s5
	v_mad_u64_u32 v[7:8], null, v3, s4, 0
	s_delay_alu instid0(VALU_DEP_1) | instskip(NEXT) | instid1(VALU_DEP_1)
	v_add3_u32 v8, v8, v9, v4
	v_dual_mov_b32 v3, v7 :: v_dual_mov_b32 v4, v8
.LBB39_26:
	s_delay_alu instid0(VALU_DEP_1)
	v_dual_mov_b32 v8, v4 :: v_dual_mov_b32 v7, v3
.LBB39_27:
	s_load_b64 s[2:3], s[0:1], 0x60
	v_dual_mov_b32 v4, 0 :: v_dual_and_b32 v3, 3, v0
	s_mov_b32 s12, exec_lo
	s_delay_alu instid0(VALU_DEP_1)
	v_cmpx_gt_i64_e64 s[8:9], v[3:4]
	s_cbranch_execz .LBB39_31
; %bb.28:
	s_xor_b32 s7, s17, s7
	v_lshlrev_b64 v[7:8], 2, v[7:8]
	s_and_b32 s7, s7, exec_lo
	s_cselect_b32 s11, 0, s11
	s_cselect_b32 s10, 1, s10
	s_xor_b32 s7, s18, s14
	v_mad_u64_u32 v[9:10], null, s10, v3, 0
	s_and_b32 s7, s7, exec_lo
	s_cselect_b32 s4, s4, 1
	s_cselect_b32 s5, s5, 0
	v_mad_u64_u32 v[12:13], null, s4, v3, 0
	s_load_b64 s[14:15], s[0:1], 0x38
	s_delay_alu instid0(VALU_DEP_2) | instskip(SKIP_1) | instid1(VALU_DEP_2)
	v_mov_b32_e32 v0, v10
	s_load_b64 s[0:1], s[0:1], 0x48
	v_mov_b32_e32 v10, v13
	s_delay_alu instid0(VALU_DEP_2) | instskip(SKIP_2) | instid1(VALU_DEP_3)
	v_mad_u64_u32 v[13:14], null, s11, v3, v[0:1]
	v_mov_b32_e32 v0, 0
	s_lshl_b64 s[10:11], s[10:11], 4
	v_mad_u64_u32 v[14:15], null, s5, v3, v[10:11]
	v_lshlrev_b64 v[15:16], 2, v[5:6]
	v_mov_b32_e32 v6, v4
	v_dual_mov_b32 v10, v13 :: v_dual_mov_b32 v5, v3
	s_lshl_b64 s[4:5], s[4:5], 4
	s_delay_alu instid0(VALU_DEP_4) | instskip(NEXT) | instid1(VALU_DEP_2)
	v_mov_b32_e32 v13, v14
	v_lshlrev_b64 v[9:10], 2, v[9:10]
	s_delay_alu instid0(VALU_DEP_2) | instskip(NEXT) | instid1(VALU_DEP_2)
	v_lshlrev_b64 v[12:13], 2, v[12:13]
	v_add_co_u32 v4, vcc_lo, v9, v15
	s_delay_alu instid0(VALU_DEP_3) | instskip(NEXT) | instid1(VALU_DEP_3)
	v_add_co_ci_u32_e32 v9, vcc_lo, v10, v16, vcc_lo
	v_add_co_u32 v10, vcc_lo, v12, v7
	s_delay_alu instid0(VALU_DEP_4)
	v_add_co_ci_u32_e32 v12, vcc_lo, v13, v8, vcc_lo
	s_waitcnt lgkmcnt(0)
	v_add_co_u32 v7, vcc_lo, s14, v4
	v_add_co_ci_u32_e32 v8, vcc_lo, s15, v9, vcc_lo
	v_add_co_u32 v9, vcc_lo, s0, v10
	v_add_co_ci_u32_e32 v10, vcc_lo, s1, v12, vcc_lo
	v_mov_b32_e32 v4, v0
	s_mov_b32 s1, 0
	.p2align	6
.LBB39_29:                              ; =>This Inner Loop Header: Depth=1
	global_load_b32 v0, v[7:8], off
	global_load_b32 v12, v[9:10], off
	v_add_co_u32 v5, vcc_lo, v5, 4
	v_add_co_ci_u32_e32 v6, vcc_lo, 0, v6, vcc_lo
	v_add_co_u32 v9, vcc_lo, v9, s4
	v_add_co_ci_u32_e32 v10, vcc_lo, s5, v10, vcc_lo
	s_delay_alu instid0(VALU_DEP_3) | instskip(SKIP_1) | instid1(VALU_DEP_1)
	v_cmp_le_i64_e32 vcc_lo, s[8:9], v[5:6]
	v_add_co_u32 v7, s0, v7, s10
	v_add_co_ci_u32_e64 v8, s0, s11, v8, s0
	s_or_b32 s1, vcc_lo, s1
	s_waitcnt vmcnt(0)
	v_fmac_f32_e32 v4, v0, v12
	s_and_not1_b32 exec_lo, exec_lo, s1
	s_cbranch_execnz .LBB39_29
; %bb.30:
	s_or_b32 exec_lo, exec_lo, s1
.LBB39_31:
	s_delay_alu instid0(SALU_CYCLE_1) | instskip(SKIP_2) | instid1(VALU_DEP_1)
	s_or_b32 exec_lo, exec_lo, s12
	v_lshlrev_b32_e32 v0, 2, v3
	s_mov_b32 s0, exec_lo
	v_lshl_or_b32 v0, v11, 4, v0
	ds_store_b32 v0, v4
	s_waitcnt lgkmcnt(0)
	s_barrier
	buffer_gl0_inv
	v_cmpx_gt_u32_e32 2, v3
	s_cbranch_execz .LBB39_33
; %bb.32:
	ds_load_2addr_b32 v[4:5], v0 offset1:2
	s_waitcnt lgkmcnt(0)
	v_add_f32_e32 v4, v5, v4
	ds_store_b32 v0, v4
.LBB39_33:
	s_or_b32 exec_lo, exec_lo, s0
	v_cmp_eq_u32_e32 vcc_lo, 0, v3
	v_lshlrev_b32_e32 v3, 4, v11
	s_waitcnt lgkmcnt(0)
	s_barrier
	buffer_gl0_inv
	s_and_saveexec_b32 s0, vcc_lo
	s_cbranch_execz .LBB39_35
; %bb.34:
	ds_load_b32 v4, v3 offset:4
	ds_load_b32 v5, v0
	s_waitcnt lgkmcnt(0)
	v_add_f32_e32 v4, v4, v5
	ds_store_b32 v0, v4
.LBB39_35:
	s_or_b32 exec_lo, exec_lo, s0
	s_waitcnt lgkmcnt(0)
	s_barrier
	buffer_gl0_inv
	s_and_b32 exec_lo, exec_lo, vcc_lo
	s_cbranch_execz .LBB39_37
; %bb.36:
	v_lshlrev_b64 v[0:1], 2, v[1:2]
	ds_load_b32 v3, v3
	v_add_co_u32 v0, vcc_lo, s2, v0
	v_add_co_ci_u32_e32 v1, vcc_lo, s3, v1, vcc_lo
	global_load_b32 v2, v[0:1], off
	s_waitcnt lgkmcnt(0)
	v_mul_f32_e32 v3, s16, v3
	s_waitcnt vmcnt(0)
	s_delay_alu instid0(VALU_DEP_1)
	v_fmac_f32_e32 v3, s6, v2
	global_store_b32 v[0:1], v3, off
.LBB39_37:
	s_nop 0
	s_sendmsg sendmsg(MSG_DEALLOC_VGPRS)
	s_endpgm
	.section	.rodata,"a",@progbits
	.p2align	6, 0x0
	.amdhsa_kernel _ZN9rocsparseL16sddmm_ell_kernelILi512ELi4EfllfffEEv20rocsparse_operation_S1_16rocsparse_order_S2_T3_S3_S3_T2_NS_24const_host_device_scalarIT1_EEPKT4_lPKT5_lS7_PT6_PKS3_21rocsparse_index_base_b
		.amdhsa_group_segment_fixed_size 2048
		.amdhsa_private_segment_fixed_size 0
		.amdhsa_kernarg_size 120
		.amdhsa_user_sgpr_count 15
		.amdhsa_user_sgpr_dispatch_ptr 0
		.amdhsa_user_sgpr_queue_ptr 0
		.amdhsa_user_sgpr_kernarg_segment_ptr 1
		.amdhsa_user_sgpr_dispatch_id 0
		.amdhsa_user_sgpr_private_segment_size 0
		.amdhsa_wavefront_size32 1
		.amdhsa_uses_dynamic_stack 0
		.amdhsa_enable_private_segment 0
		.amdhsa_system_sgpr_workgroup_id_x 1
		.amdhsa_system_sgpr_workgroup_id_y 0
		.amdhsa_system_sgpr_workgroup_id_z 0
		.amdhsa_system_sgpr_workgroup_info 0
		.amdhsa_system_vgpr_workitem_id 0
		.amdhsa_next_free_vgpr 17
		.amdhsa_next_free_sgpr 22
		.amdhsa_reserve_vcc 1
		.amdhsa_float_round_mode_32 0
		.amdhsa_float_round_mode_16_64 0
		.amdhsa_float_denorm_mode_32 3
		.amdhsa_float_denorm_mode_16_64 3
		.amdhsa_dx10_clamp 1
		.amdhsa_ieee_mode 1
		.amdhsa_fp16_overflow 0
		.amdhsa_workgroup_processor_mode 1
		.amdhsa_memory_ordered 1
		.amdhsa_forward_progress 0
		.amdhsa_shared_vgpr_count 0
		.amdhsa_exception_fp_ieee_invalid_op 0
		.amdhsa_exception_fp_denorm_src 0
		.amdhsa_exception_fp_ieee_div_zero 0
		.amdhsa_exception_fp_ieee_overflow 0
		.amdhsa_exception_fp_ieee_underflow 0
		.amdhsa_exception_fp_ieee_inexact 0
		.amdhsa_exception_int_div_zero 0
	.end_amdhsa_kernel
	.section	.text._ZN9rocsparseL16sddmm_ell_kernelILi512ELi4EfllfffEEv20rocsparse_operation_S1_16rocsparse_order_S2_T3_S3_S3_T2_NS_24const_host_device_scalarIT1_EEPKT4_lPKT5_lS7_PT6_PKS3_21rocsparse_index_base_b,"axG",@progbits,_ZN9rocsparseL16sddmm_ell_kernelILi512ELi4EfllfffEEv20rocsparse_operation_S1_16rocsparse_order_S2_T3_S3_S3_T2_NS_24const_host_device_scalarIT1_EEPKT4_lPKT5_lS7_PT6_PKS3_21rocsparse_index_base_b,comdat
.Lfunc_end39:
	.size	_ZN9rocsparseL16sddmm_ell_kernelILi512ELi4EfllfffEEv20rocsparse_operation_S1_16rocsparse_order_S2_T3_S3_S3_T2_NS_24const_host_device_scalarIT1_EEPKT4_lPKT5_lS7_PT6_PKS3_21rocsparse_index_base_b, .Lfunc_end39-_ZN9rocsparseL16sddmm_ell_kernelILi512ELi4EfllfffEEv20rocsparse_operation_S1_16rocsparse_order_S2_T3_S3_S3_T2_NS_24const_host_device_scalarIT1_EEPKT4_lPKT5_lS7_PT6_PKS3_21rocsparse_index_base_b
                                        ; -- End function
	.section	.AMDGPU.csdata,"",@progbits
; Kernel info:
; codeLenInByte = 2148
; NumSgprs: 24
; NumVgprs: 17
; ScratchSize: 0
; MemoryBound: 0
; FloatMode: 240
; IeeeMode: 1
; LDSByteSize: 2048 bytes/workgroup (compile time only)
; SGPRBlocks: 2
; VGPRBlocks: 2
; NumSGPRsForWavesPerEU: 24
; NumVGPRsForWavesPerEU: 17
; Occupancy: 16
; WaveLimiterHint : 0
; COMPUTE_PGM_RSRC2:SCRATCH_EN: 0
; COMPUTE_PGM_RSRC2:USER_SGPR: 15
; COMPUTE_PGM_RSRC2:TRAP_HANDLER: 0
; COMPUTE_PGM_RSRC2:TGID_X_EN: 1
; COMPUTE_PGM_RSRC2:TGID_Y_EN: 0
; COMPUTE_PGM_RSRC2:TGID_Z_EN: 0
; COMPUTE_PGM_RSRC2:TIDIG_COMP_CNT: 0
	.section	.text._ZN9rocsparseL16sddmm_ell_kernelILi512ELi2EfllfffEEv20rocsparse_operation_S1_16rocsparse_order_S2_T3_S3_S3_T2_NS_24const_host_device_scalarIT1_EEPKT4_lPKT5_lS7_PT6_PKS3_21rocsparse_index_base_b,"axG",@progbits,_ZN9rocsparseL16sddmm_ell_kernelILi512ELi2EfllfffEEv20rocsparse_operation_S1_16rocsparse_order_S2_T3_S3_S3_T2_NS_24const_host_device_scalarIT1_EEPKT4_lPKT5_lS7_PT6_PKS3_21rocsparse_index_base_b,comdat
	.globl	_ZN9rocsparseL16sddmm_ell_kernelILi512ELi2EfllfffEEv20rocsparse_operation_S1_16rocsparse_order_S2_T3_S3_S3_T2_NS_24const_host_device_scalarIT1_EEPKT4_lPKT5_lS7_PT6_PKS3_21rocsparse_index_base_b ; -- Begin function _ZN9rocsparseL16sddmm_ell_kernelILi512ELi2EfllfffEEv20rocsparse_operation_S1_16rocsparse_order_S2_T3_S3_S3_T2_NS_24const_host_device_scalarIT1_EEPKT4_lPKT5_lS7_PT6_PKS3_21rocsparse_index_base_b
	.p2align	8
	.type	_ZN9rocsparseL16sddmm_ell_kernelILi512ELi2EfllfffEEv20rocsparse_operation_S1_16rocsparse_order_S2_T3_S3_S3_T2_NS_24const_host_device_scalarIT1_EEPKT4_lPKT5_lS7_PT6_PKS3_21rocsparse_index_base_b,@function
_ZN9rocsparseL16sddmm_ell_kernelILi512ELi2EfllfffEEv20rocsparse_operation_S1_16rocsparse_order_S2_T3_S3_S3_T2_NS_24const_host_device_scalarIT1_EEPKT4_lPKT5_lS7_PT6_PKS3_21rocsparse_index_base_b: ; @_ZN9rocsparseL16sddmm_ell_kernelILi512ELi2EfllfffEEv20rocsparse_operation_S1_16rocsparse_order_S2_T3_S3_S3_T2_NS_24const_host_device_scalarIT1_EEPKT4_lPKT5_lS7_PT6_PKS3_21rocsparse_index_base_b
; %bb.0:
	s_clause 0x2
	s_load_b64 s[12:13], s[0:1], 0x70
	s_load_b64 s[16:17], s[0:1], 0x30
	s_load_b128 s[4:7], s[0:1], 0x50
	s_waitcnt lgkmcnt(0)
	s_bitcmp1_b32 s13, 0
	s_cselect_b32 s2, -1, 0
	s_delay_alu instid0(SALU_CYCLE_1)
	s_and_b32 vcc_lo, exec_lo, s2
	s_xor_b32 s2, s2, -1
	s_cbranch_vccnz .LBB40_2
; %bb.1:
	s_load_b32 s16, s[16:17], 0x0
.LBB40_2:
	s_and_not1_b32 vcc_lo, exec_lo, s2
	s_cbranch_vccnz .LBB40_4
; %bb.3:
	s_load_b32 s6, s[6:7], 0x0
.LBB40_4:
	s_waitcnt lgkmcnt(0)
	v_cmp_eq_f32_e64 s2, s16, 0
	v_cmp_eq_f32_e64 s3, s6, 1.0
	s_delay_alu instid0(VALU_DEP_1) | instskip(NEXT) | instid1(SALU_CYCLE_1)
	s_and_b32 s2, s2, s3
	s_and_b32 vcc_lo, exec_lo, s2
	s_cbranch_vccnz .LBB40_35
; %bb.5:
	s_load_b128 s[8:11], s[0:1], 0x20
	v_lshrrev_b32_e32 v11, 1, v0
	v_mov_b32_e32 v2, 0
	s_mov_b32 s2, exec_lo
	s_delay_alu instid0(VALU_DEP_2) | instskip(SKIP_1) | instid1(VALU_DEP_1)
	v_lshl_or_b32 v1, s15, 8, v11
	s_waitcnt lgkmcnt(0)
	v_cmpx_gt_i64_e64 s[10:11], v[1:2]
	s_cbranch_execz .LBB40_35
; %bb.6:
	s_clause 0x1
	s_load_b64 s[14:15], s[0:1], 0x10
	s_load_b64 s[10:11], s[0:1], 0x68
	s_mov_b32 s2, 0
                                        ; implicit-def: $vgpr7_vgpr8
	s_waitcnt lgkmcnt(0)
	s_mov_b32 s3, s15
	s_delay_alu instid0(SALU_CYCLE_1) | instskip(SKIP_1) | instid1(SALU_CYCLE_1)
	s_cmp_lg_u64 s[2:3], 0
	s_cselect_b32 s2, -1, 0
	s_and_saveexec_b32 s3, s2
	s_delay_alu instid0(SALU_CYCLE_1)
	s_xor_b32 s3, exec_lo, s3
	s_cbranch_execz .LBB40_8
; %bb.7:
	s_ashr_i32 s18, s15, 31
	s_delay_alu instid0(SALU_CYCLE_1) | instskip(SKIP_2) | instid1(SALU_CYCLE_1)
	s_add_u32 s20, s14, s18
	s_mov_b32 s19, s18
	s_addc_u32 s21, s15, s18
	s_xor_b64 s[18:19], s[20:21], s[18:19]
	s_delay_alu instid0(SALU_CYCLE_1) | instskip(SKIP_3) | instid1(VALU_DEP_1)
	v_cvt_f32_u32_e32 v3, s18
	v_cvt_f32_u32_e32 v4, s19
	s_sub_u32 s2, 0, s18
	s_subb_u32 s7, 0, s19
	v_fmamk_f32 v3, v4, 0x4f800000, v3
	s_delay_alu instid0(VALU_DEP_1) | instskip(SKIP_2) | instid1(VALU_DEP_1)
	v_rcp_f32_e32 v3, v3
	s_waitcnt_depctr 0xfff
	v_mul_f32_e32 v3, 0x5f7ffffc, v3
	v_mul_f32_e32 v4, 0x2f800000, v3
	s_delay_alu instid0(VALU_DEP_1) | instskip(NEXT) | instid1(VALU_DEP_1)
	v_trunc_f32_e32 v4, v4
	v_fmamk_f32 v3, v4, 0xcf800000, v3
	v_cvt_u32_f32_e32 v4, v4
	s_delay_alu instid0(VALU_DEP_2) | instskip(NEXT) | instid1(VALU_DEP_2)
	v_cvt_u32_f32_e32 v3, v3
	v_mul_lo_u32 v5, s2, v4
	s_delay_alu instid0(VALU_DEP_2) | instskip(SKIP_1) | instid1(VALU_DEP_2)
	v_mul_hi_u32 v6, s2, v3
	v_mul_lo_u32 v7, s7, v3
	v_add_nc_u32_e32 v5, v6, v5
	v_mul_lo_u32 v6, s2, v3
	s_delay_alu instid0(VALU_DEP_2) | instskip(NEXT) | instid1(VALU_DEP_2)
	v_add_nc_u32_e32 v5, v5, v7
	v_mul_hi_u32 v7, v3, v6
	s_delay_alu instid0(VALU_DEP_2)
	v_mul_lo_u32 v8, v3, v5
	v_mul_hi_u32 v9, v3, v5
	v_mul_hi_u32 v10, v4, v6
	v_mul_lo_u32 v6, v4, v6
	v_mul_hi_u32 v12, v4, v5
	v_mul_lo_u32 v5, v4, v5
	v_add_co_u32 v7, vcc_lo, v7, v8
	v_add_co_ci_u32_e32 v8, vcc_lo, 0, v9, vcc_lo
	s_delay_alu instid0(VALU_DEP_2) | instskip(NEXT) | instid1(VALU_DEP_2)
	v_add_co_u32 v6, vcc_lo, v7, v6
	v_add_co_ci_u32_e32 v6, vcc_lo, v8, v10, vcc_lo
	v_add_co_ci_u32_e32 v7, vcc_lo, 0, v12, vcc_lo
	s_delay_alu instid0(VALU_DEP_2) | instskip(NEXT) | instid1(VALU_DEP_2)
	v_add_co_u32 v5, vcc_lo, v6, v5
	v_add_co_ci_u32_e32 v6, vcc_lo, 0, v7, vcc_lo
	s_delay_alu instid0(VALU_DEP_2) | instskip(NEXT) | instid1(VALU_DEP_2)
	v_add_co_u32 v3, vcc_lo, v3, v5
	v_add_co_ci_u32_e32 v4, vcc_lo, v4, v6, vcc_lo
	s_delay_alu instid0(VALU_DEP_2) | instskip(SKIP_1) | instid1(VALU_DEP_3)
	v_mul_hi_u32 v5, s2, v3
	v_mul_lo_u32 v7, s7, v3
	v_mul_lo_u32 v6, s2, v4
	s_delay_alu instid0(VALU_DEP_1) | instskip(SKIP_1) | instid1(VALU_DEP_2)
	v_add_nc_u32_e32 v5, v5, v6
	v_mul_lo_u32 v6, s2, v3
	v_add_nc_u32_e32 v5, v5, v7
	s_delay_alu instid0(VALU_DEP_2) | instskip(NEXT) | instid1(VALU_DEP_2)
	v_mul_hi_u32 v7, v3, v6
	v_mul_lo_u32 v8, v3, v5
	v_mul_hi_u32 v9, v3, v5
	v_mul_hi_u32 v10, v4, v6
	v_mul_lo_u32 v6, v4, v6
	v_mul_hi_u32 v12, v4, v5
	v_mul_lo_u32 v5, v4, v5
	v_add_co_u32 v7, vcc_lo, v7, v8
	v_add_co_ci_u32_e32 v8, vcc_lo, 0, v9, vcc_lo
	s_delay_alu instid0(VALU_DEP_2) | instskip(NEXT) | instid1(VALU_DEP_2)
	v_add_co_u32 v6, vcc_lo, v7, v6
	v_add_co_ci_u32_e32 v6, vcc_lo, v8, v10, vcc_lo
	v_add_co_ci_u32_e32 v7, vcc_lo, 0, v12, vcc_lo
	s_delay_alu instid0(VALU_DEP_2) | instskip(NEXT) | instid1(VALU_DEP_2)
	v_add_co_u32 v5, vcc_lo, v6, v5
	v_add_co_ci_u32_e32 v6, vcc_lo, 0, v7, vcc_lo
	s_delay_alu instid0(VALU_DEP_2) | instskip(NEXT) | instid1(VALU_DEP_2)
	v_add_co_u32 v7, vcc_lo, v3, v5
	v_add_co_ci_u32_e32 v9, vcc_lo, v4, v6, vcc_lo
	s_delay_alu instid0(VALU_DEP_2) | instskip(SKIP_1) | instid1(VALU_DEP_3)
	v_mul_hi_u32 v10, v1, v7
	v_mad_u64_u32 v[5:6], null, 0, v7, 0
	v_mad_u64_u32 v[3:4], null, v1, v9, 0
	;; [unrolled: 1-line block ×3, first 2 shown]
	s_delay_alu instid0(VALU_DEP_2) | instskip(NEXT) | instid1(VALU_DEP_3)
	v_add_co_u32 v3, vcc_lo, v10, v3
	v_add_co_ci_u32_e32 v4, vcc_lo, 0, v4, vcc_lo
	s_delay_alu instid0(VALU_DEP_2) | instskip(NEXT) | instid1(VALU_DEP_2)
	v_add_co_u32 v3, vcc_lo, v3, v5
	v_add_co_ci_u32_e32 v3, vcc_lo, v4, v6, vcc_lo
	v_add_co_ci_u32_e32 v4, vcc_lo, 0, v8, vcc_lo
	s_delay_alu instid0(VALU_DEP_2) | instskip(NEXT) | instid1(VALU_DEP_2)
	v_add_co_u32 v5, vcc_lo, v3, v7
	v_add_co_ci_u32_e32 v6, vcc_lo, 0, v4, vcc_lo
	s_delay_alu instid0(VALU_DEP_2) | instskip(SKIP_1) | instid1(VALU_DEP_3)
	v_mul_lo_u32 v7, s19, v5
	v_mad_u64_u32 v[3:4], null, s18, v5, 0
	v_mul_lo_u32 v5, s18, v6
	s_delay_alu instid0(VALU_DEP_2) | instskip(NEXT) | instid1(VALU_DEP_2)
	v_sub_co_u32 v3, vcc_lo, v1, v3
	v_add3_u32 v4, v4, v5, v7
	s_delay_alu instid0(VALU_DEP_1) | instskip(NEXT) | instid1(VALU_DEP_1)
	v_sub_nc_u32_e32 v5, 0, v4
	v_subrev_co_ci_u32_e64 v5, s2, s19, v5, vcc_lo
	v_sub_co_ci_u32_e32 v4, vcc_lo, 0, v4, vcc_lo
	v_sub_co_u32 v6, vcc_lo, v3, s18
	s_delay_alu instid0(VALU_DEP_1) | instskip(SKIP_3) | instid1(VALU_DEP_3)
	v_subrev_co_ci_u32_e64 v7, s2, 0, v5, vcc_lo
	v_cmp_le_u32_e64 s2, s18, v3
	v_subrev_co_ci_u32_e32 v5, vcc_lo, s19, v5, vcc_lo
	v_cmp_le_u32_e32 vcc_lo, s19, v4
	v_cndmask_b32_e64 v8, 0, -1, s2
	v_cmp_le_u32_e64 s2, s18, v6
	v_cndmask_b32_e64 v12, 0, -1, vcc_lo
	v_cmp_eq_u32_e32 vcc_lo, s19, v7
	s_delay_alu instid0(VALU_DEP_3) | instskip(SKIP_1) | instid1(VALU_DEP_1)
	v_cndmask_b32_e64 v9, 0, -1, s2
	v_cmp_le_u32_e64 s2, s19, v7
	v_cndmask_b32_e64 v10, 0, -1, s2
	v_cmp_eq_u32_e64 s2, s19, v4
	s_delay_alu instid0(VALU_DEP_2) | instskip(SKIP_2) | instid1(VALU_DEP_3)
	v_cndmask_b32_e32 v9, v10, v9, vcc_lo
	v_sub_co_u32 v10, vcc_lo, v6, s18
	v_subrev_co_ci_u32_e32 v5, vcc_lo, 0, v5, vcc_lo
	v_cmp_ne_u32_e32 vcc_lo, 0, v9
	v_cndmask_b32_e64 v8, v12, v8, s2
	s_delay_alu instid0(VALU_DEP_3) | instskip(NEXT) | instid1(VALU_DEP_2)
	v_dual_cndmask_b32 v5, v7, v5 :: v_dual_cndmask_b32 v6, v6, v10
	v_cmp_ne_u32_e32 vcc_lo, 0, v8
	s_delay_alu instid0(VALU_DEP_2) | instskip(NEXT) | instid1(VALU_DEP_1)
	v_dual_cndmask_b32 v3, v3, v6 :: v_dual_cndmask_b32 v4, v4, v5
	v_sub_co_u32 v7, vcc_lo, v3, 0
	s_delay_alu instid0(VALU_DEP_2)
	v_subrev_co_ci_u32_e32 v8, vcc_lo, 0, v4, vcc_lo
.LBB40_8:
	s_and_not1_saveexec_b32 s2, s3
	s_cbranch_execz .LBB40_10
; %bb.9:
	v_cvt_f32_u32_e32 v3, s14
	s_sub_i32 s3, 0, s14
	v_mov_b32_e32 v8, 0
	s_delay_alu instid0(VALU_DEP_2) | instskip(SKIP_2) | instid1(VALU_DEP_1)
	v_rcp_iflag_f32_e32 v3, v3
	s_waitcnt_depctr 0xfff
	v_mul_f32_e32 v3, 0x4f7ffffe, v3
	v_cvt_u32_f32_e32 v3, v3
	s_delay_alu instid0(VALU_DEP_1) | instskip(NEXT) | instid1(VALU_DEP_1)
	v_mul_lo_u32 v4, s3, v3
	v_mul_hi_u32 v4, v3, v4
	s_delay_alu instid0(VALU_DEP_1) | instskip(NEXT) | instid1(VALU_DEP_1)
	v_add_nc_u32_e32 v3, v3, v4
	v_mul_hi_u32 v3, v1, v3
	s_delay_alu instid0(VALU_DEP_1) | instskip(NEXT) | instid1(VALU_DEP_1)
	v_mul_lo_u32 v3, v3, s14
	v_sub_nc_u32_e32 v3, v1, v3
	s_delay_alu instid0(VALU_DEP_1) | instskip(SKIP_1) | instid1(VALU_DEP_2)
	v_subrev_nc_u32_e32 v4, s14, v3
	v_cmp_le_u32_e32 vcc_lo, s14, v3
	v_cndmask_b32_e32 v3, v3, v4, vcc_lo
	s_delay_alu instid0(VALU_DEP_1) | instskip(SKIP_1) | instid1(VALU_DEP_2)
	v_subrev_nc_u32_e32 v4, s14, v3
	v_cmp_le_u32_e32 vcc_lo, s14, v3
	v_cndmask_b32_e32 v7, v3, v4, vcc_lo
.LBB40_10:
	s_or_b32 exec_lo, exec_lo, s2
	v_lshlrev_b64 v[3:4], 3, v[1:2]
	s_delay_alu instid0(VALU_DEP_1) | instskip(NEXT) | instid1(VALU_DEP_2)
	v_add_co_u32 v3, vcc_lo, s10, v3
	v_add_co_ci_u32_e32 v4, vcc_lo, s11, v4, vcc_lo
	global_load_b64 v[3:4], v[3:4], off
	s_waitcnt vmcnt(0)
	v_sub_co_u32 v5, vcc_lo, v3, s12
	v_subrev_co_ci_u32_e32 v6, vcc_lo, 0, v4, vcc_lo
	s_delay_alu instid0(VALU_DEP_1)
	v_cmp_lt_i64_e32 vcc_lo, -1, v[5:6]
	s_and_b32 exec_lo, exec_lo, vcc_lo
	s_cbranch_execz .LBB40_35
; %bb.11:
	s_clause 0x1
	s_load_b128 s[12:15], s[0:1], 0x0
	s_load_b64 s[2:3], s[0:1], 0x40
	s_waitcnt lgkmcnt(0)
	s_cmp_eq_u32 s14, 1
	s_cselect_b32 s7, -1, 0
	s_cmpk_eq_i32 s12, 0x6f
	s_cselect_b32 s17, -1, 0
	s_cmpk_lg_i32 s12, 0x6f
	s_cselect_b32 s10, -1, 0
	s_cmp_lg_u32 s14, 1
	s_cbranch_scc0 .LBB40_15
; %bb.12:
	v_dual_mov_b32 v3, v7 :: v_dual_mov_b32 v4, v8
	s_and_not1_b32 vcc_lo, exec_lo, s17
	s_cbranch_vccnz .LBB40_14
; %bb.13:
	v_mul_lo_u32 v9, v8, s2
	v_mul_lo_u32 v10, v7, s3
	v_mad_u64_u32 v[3:4], null, v7, s2, 0
	s_delay_alu instid0(VALU_DEP_1)
	v_add3_u32 v4, v4, v10, v9
.LBB40_14:
	s_cbranch_execz .LBB40_16
	s_branch .LBB40_19
.LBB40_15:
                                        ; implicit-def: $vgpr3_vgpr4
.LBB40_16:
	s_and_not1_b32 vcc_lo, exec_lo, s10
	s_cbranch_vccnz .LBB40_18
; %bb.17:
	v_mul_lo_u32 v8, v8, s2
	v_mul_lo_u32 v9, v7, s3
	v_mad_u64_u32 v[3:4], null, v7, s2, 0
	s_delay_alu instid0(VALU_DEP_1) | instskip(NEXT) | instid1(VALU_DEP_1)
	v_add3_u32 v4, v4, v9, v8
	v_dual_mov_b32 v8, v4 :: v_dual_mov_b32 v7, v3
.LBB40_18:
	s_delay_alu instid0(VALU_DEP_1)
	v_dual_mov_b32 v3, v7 :: v_dual_mov_b32 v4, v8
.LBB40_19:
	s_cmp_eq_u32 s15, 1
	s_cselect_b32 s14, -1, 0
	s_cmpk_eq_i32 s13, 0x6f
	s_cselect_b32 s18, -1, 0
	s_cmpk_lg_i32 s13, 0x6f
	s_cselect_b32 s10, -1, 0
	s_cmp_lg_u32 s15, 1
	s_cbranch_scc0 .LBB40_23
; %bb.20:
	v_dual_mov_b32 v8, v6 :: v_dual_mov_b32 v7, v5
	s_and_not1_b32 vcc_lo, exec_lo, s10
	s_cbranch_vccnz .LBB40_22
; %bb.21:
	v_mul_lo_u32 v9, v6, s4
	v_mul_lo_u32 v10, v5, s5
	v_mad_u64_u32 v[7:8], null, v5, s4, 0
	s_delay_alu instid0(VALU_DEP_1)
	v_add3_u32 v8, v8, v10, v9
.LBB40_22:
	s_cbranch_execz .LBB40_24
	s_branch .LBB40_27
.LBB40_23:
                                        ; implicit-def: $vgpr7_vgpr8
.LBB40_24:
	s_and_not1_b32 vcc_lo, exec_lo, s18
	s_cbranch_vccnz .LBB40_26
; %bb.25:
	v_mul_lo_u32 v8, v6, s4
	v_mul_lo_u32 v9, v5, s5
	v_mad_u64_u32 v[6:7], null, v5, s4, 0
	s_delay_alu instid0(VALU_DEP_1) | instskip(NEXT) | instid1(VALU_DEP_2)
	v_add3_u32 v7, v7, v9, v8
	v_mov_b32_e32 v5, v6
	s_delay_alu instid0(VALU_DEP_2)
	v_mov_b32_e32 v6, v7
.LBB40_26:
	s_delay_alu instid0(VALU_DEP_1)
	v_dual_mov_b32 v8, v6 :: v_dual_mov_b32 v7, v5
.LBB40_27:
	s_load_b64 s[10:11], s[0:1], 0x60
	v_dual_mov_b32 v6, 0 :: v_dual_and_b32 v5, 1, v0
	s_mov_b32 s12, exec_lo
	s_delay_alu instid0(VALU_DEP_1)
	v_cmpx_gt_i64_e64 s[8:9], v[5:6]
	s_cbranch_execz .LBB40_31
; %bb.28:
	s_xor_b32 s7, s17, s7
	v_lshlrev_b64 v[7:8], 2, v[7:8]
	s_and_b32 s7, s7, exec_lo
	s_cselect_b32 s21, 0, s3
	s_cselect_b32 s20, 1, s2
	s_xor_b32 s7, s18, s14
	s_load_b64 s[2:3], s[0:1], 0x48
	s_and_b32 s7, s7, exec_lo
	s_cselect_b32 s5, s5, 0
	s_cselect_b32 s4, s4, 1
	v_mul_lo_u32 v10, s5, v5
	v_mul_lo_u32 v9, s4, v5
	s_load_b64 s[0:1], s[0:1], 0x38
	v_mul_lo_u32 v13, s21, v5
	v_mul_lo_u32 v12, s20, v5
	v_lshlrev_b64 v[14:15], 2, v[3:4]
	s_delay_alu instid0(VALU_DEP_4) | instskip(NEXT) | instid1(VALU_DEP_1)
	v_lshlrev_b64 v[9:10], 2, v[9:10]
	v_add_co_u32 v0, vcc_lo, v9, v7
	s_delay_alu instid0(VALU_DEP_2) | instskip(SKIP_2) | instid1(VALU_DEP_3)
	v_add_co_ci_u32_e32 v4, vcc_lo, v10, v8, vcc_lo
	v_lshlrev_b64 v[7:8], 2, v[12:13]
	s_waitcnt lgkmcnt(0)
	v_add_co_u32 v3, vcc_lo, s2, v0
	s_delay_alu instid0(VALU_DEP_3) | instskip(SKIP_1) | instid1(VALU_DEP_4)
	v_add_co_ci_u32_e32 v4, vcc_lo, s3, v4, vcc_lo
	v_mov_b32_e32 v12, 0
	v_add_co_u32 v0, vcc_lo, v7, v14
	v_add_co_ci_u32_e32 v8, vcc_lo, v8, v15, vcc_lo
	v_dual_mov_b32 v10, v6 :: v_dual_mov_b32 v9, v5
	s_delay_alu instid0(VALU_DEP_3) | instskip(NEXT) | instid1(VALU_DEP_3)
	v_add_co_u32 v7, vcc_lo, s0, v0
	v_add_co_ci_u32_e32 v8, vcc_lo, s1, v8, vcc_lo
	v_mov_b32_e32 v6, v12
	s_mov_b32 s1, 0
	s_lshl_b64 s[2:3], s[4:5], 3
	s_lshl_b64 s[4:5], s[20:21], 3
	.p2align	6
.LBB40_29:                              ; =>This Inner Loop Header: Depth=1
	global_load_b32 v0, v[7:8], off
	global_load_b32 v12, v[3:4], off
	v_add_co_u32 v9, vcc_lo, v9, 2
	v_add_co_ci_u32_e32 v10, vcc_lo, 0, v10, vcc_lo
	v_add_co_u32 v3, vcc_lo, v3, s2
	v_add_co_ci_u32_e32 v4, vcc_lo, s3, v4, vcc_lo
	s_delay_alu instid0(VALU_DEP_3) | instskip(SKIP_1) | instid1(VALU_DEP_1)
	v_cmp_le_i64_e32 vcc_lo, s[8:9], v[9:10]
	v_add_co_u32 v7, s0, v7, s4
	v_add_co_ci_u32_e64 v8, s0, s5, v8, s0
	s_or_b32 s1, vcc_lo, s1
	s_waitcnt vmcnt(0)
	v_fmac_f32_e32 v6, v0, v12
	s_and_not1_b32 exec_lo, exec_lo, s1
	s_cbranch_execnz .LBB40_29
; %bb.30:
	s_or_b32 exec_lo, exec_lo, s1
.LBB40_31:
	s_delay_alu instid0(SALU_CYCLE_1) | instskip(SKIP_2) | instid1(VALU_DEP_2)
	s_or_b32 exec_lo, exec_lo, s12
	v_lshlrev_b32_e32 v0, 3, v11
	v_cmp_eq_u32_e32 vcc_lo, 0, v5
	v_lshl_or_b32 v3, v5, 2, v0
	ds_store_b32 v3, v6
	s_waitcnt lgkmcnt(0)
	s_barrier
	buffer_gl0_inv
	s_and_saveexec_b32 s0, vcc_lo
	s_cbranch_execz .LBB40_33
; %bb.32:
	ds_load_b32 v4, v0 offset:4
	ds_load_b32 v5, v3
	s_waitcnt lgkmcnt(0)
	v_add_f32_e32 v4, v4, v5
	ds_store_b32 v3, v4
.LBB40_33:
	s_or_b32 exec_lo, exec_lo, s0
	s_waitcnt lgkmcnt(0)
	s_barrier
	buffer_gl0_inv
	s_and_b32 exec_lo, exec_lo, vcc_lo
	s_cbranch_execz .LBB40_35
; %bb.34:
	v_lshlrev_b64 v[1:2], 2, v[1:2]
	ds_load_b32 v0, v0
	v_add_co_u32 v1, vcc_lo, s10, v1
	v_add_co_ci_u32_e32 v2, vcc_lo, s11, v2, vcc_lo
	global_load_b32 v3, v[1:2], off
	s_waitcnt lgkmcnt(0)
	v_mul_f32_e32 v0, s16, v0
	s_waitcnt vmcnt(0)
	s_delay_alu instid0(VALU_DEP_1)
	v_fmac_f32_e32 v0, s6, v3
	global_store_b32 v[1:2], v0, off
.LBB40_35:
	s_nop 0
	s_sendmsg sendmsg(MSG_DEALLOC_VGPRS)
	s_endpgm
	.section	.rodata,"a",@progbits
	.p2align	6, 0x0
	.amdhsa_kernel _ZN9rocsparseL16sddmm_ell_kernelILi512ELi2EfllfffEEv20rocsparse_operation_S1_16rocsparse_order_S2_T3_S3_S3_T2_NS_24const_host_device_scalarIT1_EEPKT4_lPKT5_lS7_PT6_PKS3_21rocsparse_index_base_b
		.amdhsa_group_segment_fixed_size 2048
		.amdhsa_private_segment_fixed_size 0
		.amdhsa_kernarg_size 120
		.amdhsa_user_sgpr_count 15
		.amdhsa_user_sgpr_dispatch_ptr 0
		.amdhsa_user_sgpr_queue_ptr 0
		.amdhsa_user_sgpr_kernarg_segment_ptr 1
		.amdhsa_user_sgpr_dispatch_id 0
		.amdhsa_user_sgpr_private_segment_size 0
		.amdhsa_wavefront_size32 1
		.amdhsa_uses_dynamic_stack 0
		.amdhsa_enable_private_segment 0
		.amdhsa_system_sgpr_workgroup_id_x 1
		.amdhsa_system_sgpr_workgroup_id_y 0
		.amdhsa_system_sgpr_workgroup_id_z 0
		.amdhsa_system_sgpr_workgroup_info 0
		.amdhsa_system_vgpr_workitem_id 0
		.amdhsa_next_free_vgpr 16
		.amdhsa_next_free_sgpr 22
		.amdhsa_reserve_vcc 1
		.amdhsa_float_round_mode_32 0
		.amdhsa_float_round_mode_16_64 0
		.amdhsa_float_denorm_mode_32 3
		.amdhsa_float_denorm_mode_16_64 3
		.amdhsa_dx10_clamp 1
		.amdhsa_ieee_mode 1
		.amdhsa_fp16_overflow 0
		.amdhsa_workgroup_processor_mode 1
		.amdhsa_memory_ordered 1
		.amdhsa_forward_progress 0
		.amdhsa_shared_vgpr_count 0
		.amdhsa_exception_fp_ieee_invalid_op 0
		.amdhsa_exception_fp_denorm_src 0
		.amdhsa_exception_fp_ieee_div_zero 0
		.amdhsa_exception_fp_ieee_overflow 0
		.amdhsa_exception_fp_ieee_underflow 0
		.amdhsa_exception_fp_ieee_inexact 0
		.amdhsa_exception_int_div_zero 0
	.end_amdhsa_kernel
	.section	.text._ZN9rocsparseL16sddmm_ell_kernelILi512ELi2EfllfffEEv20rocsparse_operation_S1_16rocsparse_order_S2_T3_S3_S3_T2_NS_24const_host_device_scalarIT1_EEPKT4_lPKT5_lS7_PT6_PKS3_21rocsparse_index_base_b,"axG",@progbits,_ZN9rocsparseL16sddmm_ell_kernelILi512ELi2EfllfffEEv20rocsparse_operation_S1_16rocsparse_order_S2_T3_S3_S3_T2_NS_24const_host_device_scalarIT1_EEPKT4_lPKT5_lS7_PT6_PKS3_21rocsparse_index_base_b,comdat
.Lfunc_end40:
	.size	_ZN9rocsparseL16sddmm_ell_kernelILi512ELi2EfllfffEEv20rocsparse_operation_S1_16rocsparse_order_S2_T3_S3_S3_T2_NS_24const_host_device_scalarIT1_EEPKT4_lPKT5_lS7_PT6_PKS3_21rocsparse_index_base_b, .Lfunc_end40-_ZN9rocsparseL16sddmm_ell_kernelILi512ELi2EfllfffEEv20rocsparse_operation_S1_16rocsparse_order_S2_T3_S3_S3_T2_NS_24const_host_device_scalarIT1_EEPKT4_lPKT5_lS7_PT6_PKS3_21rocsparse_index_base_b
                                        ; -- End function
	.section	.AMDGPU.csdata,"",@progbits
; Kernel info:
; codeLenInByte = 2068
; NumSgprs: 24
; NumVgprs: 16
; ScratchSize: 0
; MemoryBound: 0
; FloatMode: 240
; IeeeMode: 1
; LDSByteSize: 2048 bytes/workgroup (compile time only)
; SGPRBlocks: 2
; VGPRBlocks: 1
; NumSGPRsForWavesPerEU: 24
; NumVGPRsForWavesPerEU: 16
; Occupancy: 16
; WaveLimiterHint : 0
; COMPUTE_PGM_RSRC2:SCRATCH_EN: 0
; COMPUTE_PGM_RSRC2:USER_SGPR: 15
; COMPUTE_PGM_RSRC2:TRAP_HANDLER: 0
; COMPUTE_PGM_RSRC2:TGID_X_EN: 1
; COMPUTE_PGM_RSRC2:TGID_Y_EN: 0
; COMPUTE_PGM_RSRC2:TGID_Z_EN: 0
; COMPUTE_PGM_RSRC2:TIDIG_COMP_CNT: 0
	.section	.text._ZN9rocsparseL16sddmm_ell_kernelILi512ELi1EfllfffEEv20rocsparse_operation_S1_16rocsparse_order_S2_T3_S3_S3_T2_NS_24const_host_device_scalarIT1_EEPKT4_lPKT5_lS7_PT6_PKS3_21rocsparse_index_base_b,"axG",@progbits,_ZN9rocsparseL16sddmm_ell_kernelILi512ELi1EfllfffEEv20rocsparse_operation_S1_16rocsparse_order_S2_T3_S3_S3_T2_NS_24const_host_device_scalarIT1_EEPKT4_lPKT5_lS7_PT6_PKS3_21rocsparse_index_base_b,comdat
	.globl	_ZN9rocsparseL16sddmm_ell_kernelILi512ELi1EfllfffEEv20rocsparse_operation_S1_16rocsparse_order_S2_T3_S3_S3_T2_NS_24const_host_device_scalarIT1_EEPKT4_lPKT5_lS7_PT6_PKS3_21rocsparse_index_base_b ; -- Begin function _ZN9rocsparseL16sddmm_ell_kernelILi512ELi1EfllfffEEv20rocsparse_operation_S1_16rocsparse_order_S2_T3_S3_S3_T2_NS_24const_host_device_scalarIT1_EEPKT4_lPKT5_lS7_PT6_PKS3_21rocsparse_index_base_b
	.p2align	8
	.type	_ZN9rocsparseL16sddmm_ell_kernelILi512ELi1EfllfffEEv20rocsparse_operation_S1_16rocsparse_order_S2_T3_S3_S3_T2_NS_24const_host_device_scalarIT1_EEPKT4_lPKT5_lS7_PT6_PKS3_21rocsparse_index_base_b,@function
_ZN9rocsparseL16sddmm_ell_kernelILi512ELi1EfllfffEEv20rocsparse_operation_S1_16rocsparse_order_S2_T3_S3_S3_T2_NS_24const_host_device_scalarIT1_EEPKT4_lPKT5_lS7_PT6_PKS3_21rocsparse_index_base_b: ; @_ZN9rocsparseL16sddmm_ell_kernelILi512ELi1EfllfffEEv20rocsparse_operation_S1_16rocsparse_order_S2_T3_S3_S3_T2_NS_24const_host_device_scalarIT1_EEPKT4_lPKT5_lS7_PT6_PKS3_21rocsparse_index_base_b
; %bb.0:
	s_clause 0x2
	s_load_b64 s[12:13], s[0:1], 0x70
	s_load_b64 s[16:17], s[0:1], 0x30
	s_load_b128 s[4:7], s[0:1], 0x50
	s_waitcnt lgkmcnt(0)
	s_bitcmp1_b32 s13, 0
	s_cselect_b32 s2, -1, 0
	s_delay_alu instid0(SALU_CYCLE_1)
	s_and_b32 vcc_lo, exec_lo, s2
	s_xor_b32 s2, s2, -1
	s_cbranch_vccnz .LBB41_2
; %bb.1:
	s_load_b32 s16, s[16:17], 0x0
.LBB41_2:
	s_and_not1_b32 vcc_lo, exec_lo, s2
	s_cbranch_vccnz .LBB41_4
; %bb.3:
	s_load_b32 s6, s[6:7], 0x0
.LBB41_4:
	s_waitcnt lgkmcnt(0)
	v_cmp_eq_f32_e64 s2, s16, 0
	v_cmp_eq_f32_e64 s3, s6, 1.0
	s_delay_alu instid0(VALU_DEP_1) | instskip(NEXT) | instid1(SALU_CYCLE_1)
	s_and_b32 s2, s2, s3
	s_and_b32 vcc_lo, exec_lo, s2
	s_cbranch_vccnz .LBB41_32
; %bb.5:
	s_load_b128 s[8:11], s[0:1], 0x20
	v_lshl_or_b32 v1, s15, 9, v0
	v_mov_b32_e32 v2, 0
	s_mov_b32 s2, exec_lo
	s_waitcnt lgkmcnt(0)
	s_delay_alu instid0(VALU_DEP_1)
	v_cmpx_gt_i64_e64 s[10:11], v[1:2]
	s_cbranch_execz .LBB41_32
; %bb.6:
	s_clause 0x1
	s_load_b64 s[14:15], s[0:1], 0x10
	s_load_b64 s[10:11], s[0:1], 0x68
	s_mov_b32 s2, 0
                                        ; implicit-def: $vgpr7_vgpr8
	s_waitcnt lgkmcnt(0)
	s_mov_b32 s3, s15
	s_delay_alu instid0(SALU_CYCLE_1) | instskip(SKIP_1) | instid1(SALU_CYCLE_1)
	s_cmp_lg_u64 s[2:3], 0
	s_cselect_b32 s2, -1, 0
	s_and_saveexec_b32 s3, s2
	s_delay_alu instid0(SALU_CYCLE_1)
	s_xor_b32 s3, exec_lo, s3
	s_cbranch_execz .LBB41_8
; %bb.7:
	s_ashr_i32 s18, s15, 31
	s_delay_alu instid0(SALU_CYCLE_1) | instskip(SKIP_2) | instid1(SALU_CYCLE_1)
	s_add_u32 s20, s14, s18
	s_mov_b32 s19, s18
	s_addc_u32 s21, s15, s18
	s_xor_b64 s[18:19], s[20:21], s[18:19]
	s_delay_alu instid0(SALU_CYCLE_1) | instskip(SKIP_3) | instid1(VALU_DEP_1)
	v_cvt_f32_u32_e32 v3, s18
	v_cvt_f32_u32_e32 v4, s19
	s_sub_u32 s2, 0, s18
	s_subb_u32 s7, 0, s19
	v_fmamk_f32 v3, v4, 0x4f800000, v3
	s_delay_alu instid0(VALU_DEP_1) | instskip(SKIP_2) | instid1(VALU_DEP_1)
	v_rcp_f32_e32 v3, v3
	s_waitcnt_depctr 0xfff
	v_mul_f32_e32 v3, 0x5f7ffffc, v3
	v_mul_f32_e32 v4, 0x2f800000, v3
	s_delay_alu instid0(VALU_DEP_1) | instskip(NEXT) | instid1(VALU_DEP_1)
	v_trunc_f32_e32 v4, v4
	v_fmamk_f32 v3, v4, 0xcf800000, v3
	v_cvt_u32_f32_e32 v4, v4
	s_delay_alu instid0(VALU_DEP_2) | instskip(NEXT) | instid1(VALU_DEP_2)
	v_cvt_u32_f32_e32 v3, v3
	v_mul_lo_u32 v5, s2, v4
	s_delay_alu instid0(VALU_DEP_2) | instskip(SKIP_1) | instid1(VALU_DEP_2)
	v_mul_hi_u32 v6, s2, v3
	v_mul_lo_u32 v7, s7, v3
	v_add_nc_u32_e32 v5, v6, v5
	v_mul_lo_u32 v6, s2, v3
	s_delay_alu instid0(VALU_DEP_2) | instskip(NEXT) | instid1(VALU_DEP_2)
	v_add_nc_u32_e32 v5, v5, v7
	v_mul_hi_u32 v7, v3, v6
	s_delay_alu instid0(VALU_DEP_2)
	v_mul_lo_u32 v8, v3, v5
	v_mul_hi_u32 v9, v3, v5
	v_mul_hi_u32 v10, v4, v6
	v_mul_lo_u32 v6, v4, v6
	v_mul_hi_u32 v11, v4, v5
	v_mul_lo_u32 v5, v4, v5
	v_add_co_u32 v7, vcc_lo, v7, v8
	v_add_co_ci_u32_e32 v8, vcc_lo, 0, v9, vcc_lo
	s_delay_alu instid0(VALU_DEP_2) | instskip(NEXT) | instid1(VALU_DEP_2)
	v_add_co_u32 v6, vcc_lo, v7, v6
	v_add_co_ci_u32_e32 v6, vcc_lo, v8, v10, vcc_lo
	v_add_co_ci_u32_e32 v7, vcc_lo, 0, v11, vcc_lo
	s_delay_alu instid0(VALU_DEP_2) | instskip(NEXT) | instid1(VALU_DEP_2)
	v_add_co_u32 v5, vcc_lo, v6, v5
	v_add_co_ci_u32_e32 v6, vcc_lo, 0, v7, vcc_lo
	s_delay_alu instid0(VALU_DEP_2) | instskip(NEXT) | instid1(VALU_DEP_2)
	v_add_co_u32 v3, vcc_lo, v3, v5
	v_add_co_ci_u32_e32 v4, vcc_lo, v4, v6, vcc_lo
	s_delay_alu instid0(VALU_DEP_2) | instskip(SKIP_1) | instid1(VALU_DEP_3)
	v_mul_hi_u32 v5, s2, v3
	v_mul_lo_u32 v7, s7, v3
	v_mul_lo_u32 v6, s2, v4
	s_delay_alu instid0(VALU_DEP_1) | instskip(SKIP_1) | instid1(VALU_DEP_2)
	v_add_nc_u32_e32 v5, v5, v6
	v_mul_lo_u32 v6, s2, v3
	v_add_nc_u32_e32 v5, v5, v7
	s_delay_alu instid0(VALU_DEP_2) | instskip(NEXT) | instid1(VALU_DEP_2)
	v_mul_hi_u32 v7, v3, v6
	v_mul_lo_u32 v8, v3, v5
	v_mul_hi_u32 v9, v3, v5
	v_mul_hi_u32 v10, v4, v6
	v_mul_lo_u32 v6, v4, v6
	v_mul_hi_u32 v11, v4, v5
	v_mul_lo_u32 v5, v4, v5
	v_add_co_u32 v7, vcc_lo, v7, v8
	v_add_co_ci_u32_e32 v8, vcc_lo, 0, v9, vcc_lo
	s_delay_alu instid0(VALU_DEP_2) | instskip(NEXT) | instid1(VALU_DEP_2)
	v_add_co_u32 v6, vcc_lo, v7, v6
	v_add_co_ci_u32_e32 v6, vcc_lo, v8, v10, vcc_lo
	v_add_co_ci_u32_e32 v7, vcc_lo, 0, v11, vcc_lo
	s_delay_alu instid0(VALU_DEP_2) | instskip(NEXT) | instid1(VALU_DEP_2)
	v_add_co_u32 v5, vcc_lo, v6, v5
	v_add_co_ci_u32_e32 v6, vcc_lo, 0, v7, vcc_lo
	s_delay_alu instid0(VALU_DEP_2) | instskip(NEXT) | instid1(VALU_DEP_2)
	v_add_co_u32 v7, vcc_lo, v3, v5
	v_add_co_ci_u32_e32 v9, vcc_lo, v4, v6, vcc_lo
	s_delay_alu instid0(VALU_DEP_2) | instskip(SKIP_1) | instid1(VALU_DEP_3)
	v_mul_hi_u32 v10, v1, v7
	v_mad_u64_u32 v[5:6], null, 0, v7, 0
	v_mad_u64_u32 v[3:4], null, v1, v9, 0
	v_mad_u64_u32 v[7:8], null, 0, v9, 0
	s_delay_alu instid0(VALU_DEP_2) | instskip(NEXT) | instid1(VALU_DEP_3)
	v_add_co_u32 v3, vcc_lo, v10, v3
	v_add_co_ci_u32_e32 v4, vcc_lo, 0, v4, vcc_lo
	s_delay_alu instid0(VALU_DEP_2) | instskip(NEXT) | instid1(VALU_DEP_2)
	v_add_co_u32 v3, vcc_lo, v3, v5
	v_add_co_ci_u32_e32 v3, vcc_lo, v4, v6, vcc_lo
	v_add_co_ci_u32_e32 v4, vcc_lo, 0, v8, vcc_lo
	s_delay_alu instid0(VALU_DEP_2) | instskip(NEXT) | instid1(VALU_DEP_2)
	v_add_co_u32 v5, vcc_lo, v3, v7
	v_add_co_ci_u32_e32 v6, vcc_lo, 0, v4, vcc_lo
	s_delay_alu instid0(VALU_DEP_2) | instskip(SKIP_1) | instid1(VALU_DEP_3)
	v_mul_lo_u32 v7, s19, v5
	v_mad_u64_u32 v[3:4], null, s18, v5, 0
	v_mul_lo_u32 v5, s18, v6
	s_delay_alu instid0(VALU_DEP_2) | instskip(NEXT) | instid1(VALU_DEP_2)
	v_sub_co_u32 v3, vcc_lo, v1, v3
	v_add3_u32 v4, v4, v5, v7
	s_delay_alu instid0(VALU_DEP_1) | instskip(NEXT) | instid1(VALU_DEP_1)
	v_sub_nc_u32_e32 v5, 0, v4
	v_subrev_co_ci_u32_e64 v5, s2, s19, v5, vcc_lo
	v_sub_co_ci_u32_e32 v4, vcc_lo, 0, v4, vcc_lo
	v_sub_co_u32 v6, vcc_lo, v3, s18
	s_delay_alu instid0(VALU_DEP_1) | instskip(SKIP_3) | instid1(VALU_DEP_3)
	v_subrev_co_ci_u32_e64 v7, s2, 0, v5, vcc_lo
	v_cmp_le_u32_e64 s2, s18, v3
	v_subrev_co_ci_u32_e32 v5, vcc_lo, s19, v5, vcc_lo
	v_cmp_le_u32_e32 vcc_lo, s19, v4
	v_cndmask_b32_e64 v8, 0, -1, s2
	v_cmp_le_u32_e64 s2, s18, v6
	v_cndmask_b32_e64 v11, 0, -1, vcc_lo
	v_cmp_eq_u32_e32 vcc_lo, s19, v7
	s_delay_alu instid0(VALU_DEP_3) | instskip(SKIP_1) | instid1(VALU_DEP_1)
	v_cndmask_b32_e64 v9, 0, -1, s2
	v_cmp_le_u32_e64 s2, s19, v7
	v_cndmask_b32_e64 v10, 0, -1, s2
	v_cmp_eq_u32_e64 s2, s19, v4
	s_delay_alu instid0(VALU_DEP_2) | instskip(SKIP_2) | instid1(VALU_DEP_3)
	v_cndmask_b32_e32 v9, v10, v9, vcc_lo
	v_sub_co_u32 v10, vcc_lo, v6, s18
	v_subrev_co_ci_u32_e32 v5, vcc_lo, 0, v5, vcc_lo
	v_cmp_ne_u32_e32 vcc_lo, 0, v9
	v_cndmask_b32_e64 v8, v11, v8, s2
	s_delay_alu instid0(VALU_DEP_3) | instskip(NEXT) | instid1(VALU_DEP_2)
	v_dual_cndmask_b32 v5, v7, v5 :: v_dual_cndmask_b32 v6, v6, v10
	v_cmp_ne_u32_e32 vcc_lo, 0, v8
	s_delay_alu instid0(VALU_DEP_2) | instskip(NEXT) | instid1(VALU_DEP_1)
	v_dual_cndmask_b32 v3, v3, v6 :: v_dual_cndmask_b32 v4, v4, v5
	v_sub_co_u32 v7, vcc_lo, v3, 0
	s_delay_alu instid0(VALU_DEP_2)
	v_subrev_co_ci_u32_e32 v8, vcc_lo, 0, v4, vcc_lo
.LBB41_8:
	s_and_not1_saveexec_b32 s2, s3
	s_cbranch_execz .LBB41_10
; %bb.9:
	v_cvt_f32_u32_e32 v3, s14
	s_sub_i32 s3, 0, s14
	v_mov_b32_e32 v8, 0
	s_delay_alu instid0(VALU_DEP_2) | instskip(SKIP_2) | instid1(VALU_DEP_1)
	v_rcp_iflag_f32_e32 v3, v3
	s_waitcnt_depctr 0xfff
	v_mul_f32_e32 v3, 0x4f7ffffe, v3
	v_cvt_u32_f32_e32 v3, v3
	s_delay_alu instid0(VALU_DEP_1) | instskip(NEXT) | instid1(VALU_DEP_1)
	v_mul_lo_u32 v4, s3, v3
	v_mul_hi_u32 v4, v3, v4
	s_delay_alu instid0(VALU_DEP_1) | instskip(NEXT) | instid1(VALU_DEP_1)
	v_add_nc_u32_e32 v3, v3, v4
	v_mul_hi_u32 v3, v1, v3
	s_delay_alu instid0(VALU_DEP_1) | instskip(NEXT) | instid1(VALU_DEP_1)
	v_mul_lo_u32 v3, v3, s14
	v_sub_nc_u32_e32 v3, v1, v3
	s_delay_alu instid0(VALU_DEP_1) | instskip(SKIP_1) | instid1(VALU_DEP_2)
	v_subrev_nc_u32_e32 v4, s14, v3
	v_cmp_le_u32_e32 vcc_lo, s14, v3
	v_cndmask_b32_e32 v3, v3, v4, vcc_lo
	s_delay_alu instid0(VALU_DEP_1) | instskip(SKIP_1) | instid1(VALU_DEP_2)
	v_subrev_nc_u32_e32 v4, s14, v3
	v_cmp_le_u32_e32 vcc_lo, s14, v3
	v_cndmask_b32_e32 v7, v3, v4, vcc_lo
.LBB41_10:
	s_or_b32 exec_lo, exec_lo, s2
	v_lshlrev_b64 v[3:4], 3, v[1:2]
	s_delay_alu instid0(VALU_DEP_1) | instskip(NEXT) | instid1(VALU_DEP_2)
	v_add_co_u32 v3, vcc_lo, s10, v3
	v_add_co_ci_u32_e32 v4, vcc_lo, s11, v4, vcc_lo
	global_load_b64 v[3:4], v[3:4], off
	s_waitcnt vmcnt(0)
	v_sub_co_u32 v3, vcc_lo, v3, s12
	v_subrev_co_ci_u32_e32 v4, vcc_lo, 0, v4, vcc_lo
	s_delay_alu instid0(VALU_DEP_1)
	v_cmp_lt_i64_e32 vcc_lo, -1, v[3:4]
	s_and_b32 exec_lo, exec_lo, vcc_lo
	s_cbranch_execz .LBB41_32
; %bb.11:
	s_clause 0x1
	s_load_b128 s[12:15], s[0:1], 0x0
	s_load_b64 s[2:3], s[0:1], 0x40
	s_waitcnt lgkmcnt(0)
	s_cmp_eq_u32 s14, 1
	s_cselect_b32 s7, -1, 0
	s_cmpk_eq_i32 s12, 0x6f
	s_cselect_b32 s17, -1, 0
	s_cmpk_lg_i32 s12, 0x6f
	s_cselect_b32 s10, -1, 0
	s_cmp_lg_u32 s14, 1
	s_cbranch_scc0 .LBB41_15
; %bb.12:
	v_dual_mov_b32 v5, v7 :: v_dual_mov_b32 v6, v8
	s_and_not1_b32 vcc_lo, exec_lo, s17
	s_cbranch_vccnz .LBB41_14
; %bb.13:
	v_mul_lo_u32 v9, v8, s2
	v_mul_lo_u32 v10, v7, s3
	v_mad_u64_u32 v[5:6], null, v7, s2, 0
	s_delay_alu instid0(VALU_DEP_1)
	v_add3_u32 v6, v6, v10, v9
.LBB41_14:
	s_cbranch_execz .LBB41_16
	s_branch .LBB41_19
.LBB41_15:
                                        ; implicit-def: $vgpr5_vgpr6
.LBB41_16:
	s_and_not1_b32 vcc_lo, exec_lo, s10
	s_cbranch_vccnz .LBB41_18
; %bb.17:
	v_mul_lo_u32 v8, v8, s2
	v_mul_lo_u32 v9, v7, s3
	v_mad_u64_u32 v[5:6], null, v7, s2, 0
	s_delay_alu instid0(VALU_DEP_1) | instskip(NEXT) | instid1(VALU_DEP_1)
	v_add3_u32 v6, v6, v9, v8
	v_dual_mov_b32 v8, v6 :: v_dual_mov_b32 v7, v5
.LBB41_18:
	s_delay_alu instid0(VALU_DEP_1)
	v_dual_mov_b32 v5, v7 :: v_dual_mov_b32 v6, v8
.LBB41_19:
	s_cmp_eq_u32 s15, 1
	s_cselect_b32 s12, -1, 0
	s_cmpk_eq_i32 s13, 0x6f
	s_cselect_b32 s14, -1, 0
	s_cmpk_lg_i32 s13, 0x6f
	s_cselect_b32 s10, -1, 0
	s_cmp_lg_u32 s15, 1
	s_cbranch_scc0 .LBB41_23
; %bb.20:
	v_dual_mov_b32 v8, v4 :: v_dual_mov_b32 v7, v3
	s_and_not1_b32 vcc_lo, exec_lo, s10
	s_cbranch_vccnz .LBB41_22
; %bb.21:
	v_mul_lo_u32 v9, v4, s4
	v_mul_lo_u32 v10, v3, s5
	v_mad_u64_u32 v[7:8], null, v3, s4, 0
	s_delay_alu instid0(VALU_DEP_1)
	v_add3_u32 v8, v8, v10, v9
.LBB41_22:
	s_cbranch_execz .LBB41_24
	s_branch .LBB41_27
.LBB41_23:
                                        ; implicit-def: $vgpr7_vgpr8
.LBB41_24:
	s_and_not1_b32 vcc_lo, exec_lo, s14
	s_cbranch_vccnz .LBB41_26
; %bb.25:
	v_mul_lo_u32 v4, v4, s4
	v_mul_lo_u32 v9, v3, s5
	v_mad_u64_u32 v[7:8], null, v3, s4, 0
	s_delay_alu instid0(VALU_DEP_1) | instskip(NEXT) | instid1(VALU_DEP_1)
	v_add3_u32 v8, v8, v9, v4
	v_dual_mov_b32 v3, v7 :: v_dual_mov_b32 v4, v8
.LBB41_26:
	s_delay_alu instid0(VALU_DEP_1)
	v_dual_mov_b32 v8, v4 :: v_dual_mov_b32 v7, v3
.LBB41_27:
	s_load_b64 s[10:11], s[0:1], 0x60
	v_cmp_lt_i64_e64 s13, s[8:9], 1
	s_delay_alu instid0(VALU_DEP_1)
	s_and_b32 vcc_lo, exec_lo, s13
	s_cbranch_vccnz .LBB41_30
; %bb.28:
	s_clause 0x1
	s_load_b64 s[18:19], s[0:1], 0x48
	s_load_b64 s[0:1], s[0:1], 0x38
	v_lshlrev_b64 v[3:4], 2, v[7:8]
	v_lshlrev_b64 v[5:6], 2, v[5:6]
	s_xor_b32 s7, s17, s7
	v_mov_b32_e32 v7, 0
	s_and_b32 s7, s7, exec_lo
	s_cselect_b32 s3, 0, s3
	s_cselect_b32 s2, 1, s2
	s_xor_b32 s7, s14, s12
	s_delay_alu instid0(SALU_CYCLE_1)
	s_and_b32 s7, s7, exec_lo
	s_cselect_b32 s5, s5, 0
	s_cselect_b32 s4, s4, 1
	s_lshl_b64 s[2:3], s[2:3], 2
	s_waitcnt lgkmcnt(0)
	v_add_co_u32 v3, vcc_lo, s18, v3
	v_add_co_ci_u32_e32 v4, vcc_lo, s19, v4, vcc_lo
	v_add_co_u32 v5, vcc_lo, s0, v5
	v_add_co_ci_u32_e32 v6, vcc_lo, s1, v6, vcc_lo
	s_lshl_b64 s[0:1], s[4:5], 2
.LBB41_29:                              ; =>This Inner Loop Header: Depth=1
	global_load_b32 v8, v[5:6], off
	global_load_b32 v9, v[3:4], off
	v_add_co_u32 v3, vcc_lo, v3, s0
	v_add_co_ci_u32_e32 v4, vcc_lo, s1, v4, vcc_lo
	v_add_co_u32 v5, vcc_lo, v5, s2
	s_add_u32 s8, s8, -1
	v_add_co_ci_u32_e32 v6, vcc_lo, s3, v6, vcc_lo
	s_addc_u32 s9, s9, -1
	s_delay_alu instid0(SALU_CYCLE_1)
	s_cmp_eq_u64 s[8:9], 0
	s_waitcnt vmcnt(0)
	v_fmac_f32_e32 v7, v8, v9
	s_cbranch_scc0 .LBB41_29
	s_branch .LBB41_31
.LBB41_30:
	v_mov_b32_e32 v7, 0
.LBB41_31:
	v_lshlrev_b64 v[1:2], 2, v[1:2]
	v_lshlrev_b32_e32 v3, 2, v0
	ds_store_b32 v3, v7
	s_waitcnt lgkmcnt(0)
	v_add_co_u32 v0, vcc_lo, s10, v1
	v_add_co_ci_u32_e32 v1, vcc_lo, s11, v2, vcc_lo
	s_barrier
	buffer_gl0_inv
	global_load_b32 v2, v[0:1], off
	ds_load_b32 v3, v3
	s_waitcnt lgkmcnt(0)
	v_mul_f32_e32 v3, s16, v3
	s_waitcnt vmcnt(0)
	s_delay_alu instid0(VALU_DEP_1)
	v_fmac_f32_e32 v3, s6, v2
	global_store_b32 v[0:1], v3, off
.LBB41_32:
	s_nop 0
	s_sendmsg sendmsg(MSG_DEALLOC_VGPRS)
	s_endpgm
	.section	.rodata,"a",@progbits
	.p2align	6, 0x0
	.amdhsa_kernel _ZN9rocsparseL16sddmm_ell_kernelILi512ELi1EfllfffEEv20rocsparse_operation_S1_16rocsparse_order_S2_T3_S3_S3_T2_NS_24const_host_device_scalarIT1_EEPKT4_lPKT5_lS7_PT6_PKS3_21rocsparse_index_base_b
		.amdhsa_group_segment_fixed_size 2048
		.amdhsa_private_segment_fixed_size 0
		.amdhsa_kernarg_size 120
		.amdhsa_user_sgpr_count 15
		.amdhsa_user_sgpr_dispatch_ptr 0
		.amdhsa_user_sgpr_queue_ptr 0
		.amdhsa_user_sgpr_kernarg_segment_ptr 1
		.amdhsa_user_sgpr_dispatch_id 0
		.amdhsa_user_sgpr_private_segment_size 0
		.amdhsa_wavefront_size32 1
		.amdhsa_uses_dynamic_stack 0
		.amdhsa_enable_private_segment 0
		.amdhsa_system_sgpr_workgroup_id_x 1
		.amdhsa_system_sgpr_workgroup_id_y 0
		.amdhsa_system_sgpr_workgroup_id_z 0
		.amdhsa_system_sgpr_workgroup_info 0
		.amdhsa_system_vgpr_workitem_id 0
		.amdhsa_next_free_vgpr 12
		.amdhsa_next_free_sgpr 22
		.amdhsa_reserve_vcc 1
		.amdhsa_float_round_mode_32 0
		.amdhsa_float_round_mode_16_64 0
		.amdhsa_float_denorm_mode_32 3
		.amdhsa_float_denorm_mode_16_64 3
		.amdhsa_dx10_clamp 1
		.amdhsa_ieee_mode 1
		.amdhsa_fp16_overflow 0
		.amdhsa_workgroup_processor_mode 1
		.amdhsa_memory_ordered 1
		.amdhsa_forward_progress 0
		.amdhsa_shared_vgpr_count 0
		.amdhsa_exception_fp_ieee_invalid_op 0
		.amdhsa_exception_fp_denorm_src 0
		.amdhsa_exception_fp_ieee_div_zero 0
		.amdhsa_exception_fp_ieee_overflow 0
		.amdhsa_exception_fp_ieee_underflow 0
		.amdhsa_exception_fp_ieee_inexact 0
		.amdhsa_exception_int_div_zero 0
	.end_amdhsa_kernel
	.section	.text._ZN9rocsparseL16sddmm_ell_kernelILi512ELi1EfllfffEEv20rocsparse_operation_S1_16rocsparse_order_S2_T3_S3_S3_T2_NS_24const_host_device_scalarIT1_EEPKT4_lPKT5_lS7_PT6_PKS3_21rocsparse_index_base_b,"axG",@progbits,_ZN9rocsparseL16sddmm_ell_kernelILi512ELi1EfllfffEEv20rocsparse_operation_S1_16rocsparse_order_S2_T3_S3_S3_T2_NS_24const_host_device_scalarIT1_EEPKT4_lPKT5_lS7_PT6_PKS3_21rocsparse_index_base_b,comdat
.Lfunc_end41:
	.size	_ZN9rocsparseL16sddmm_ell_kernelILi512ELi1EfllfffEEv20rocsparse_operation_S1_16rocsparse_order_S2_T3_S3_S3_T2_NS_24const_host_device_scalarIT1_EEPKT4_lPKT5_lS7_PT6_PKS3_21rocsparse_index_base_b, .Lfunc_end41-_ZN9rocsparseL16sddmm_ell_kernelILi512ELi1EfllfffEEv20rocsparse_operation_S1_16rocsparse_order_S2_T3_S3_S3_T2_NS_24const_host_device_scalarIT1_EEPKT4_lPKT5_lS7_PT6_PKS3_21rocsparse_index_base_b
                                        ; -- End function
	.section	.AMDGPU.csdata,"",@progbits
; Kernel info:
; codeLenInByte = 1856
; NumSgprs: 24
; NumVgprs: 12
; ScratchSize: 0
; MemoryBound: 0
; FloatMode: 240
; IeeeMode: 1
; LDSByteSize: 2048 bytes/workgroup (compile time only)
; SGPRBlocks: 2
; VGPRBlocks: 1
; NumSGPRsForWavesPerEU: 24
; NumVGPRsForWavesPerEU: 12
; Occupancy: 16
; WaveLimiterHint : 0
; COMPUTE_PGM_RSRC2:SCRATCH_EN: 0
; COMPUTE_PGM_RSRC2:USER_SGPR: 15
; COMPUTE_PGM_RSRC2:TRAP_HANDLER: 0
; COMPUTE_PGM_RSRC2:TGID_X_EN: 1
; COMPUTE_PGM_RSRC2:TGID_Y_EN: 0
; COMPUTE_PGM_RSRC2:TGID_Z_EN: 0
; COMPUTE_PGM_RSRC2:TIDIG_COMP_CNT: 0
	.section	.text._ZN9rocsparseL23sddmm_ell_sample_kernelILi16ELi32EdldEEvT2_S1_PKT3_lS1_PS2_PKS1_21rocsparse_index_base_,"axG",@progbits,_ZN9rocsparseL23sddmm_ell_sample_kernelILi16ELi32EdldEEvT2_S1_PKT3_lS1_PS2_PKS1_21rocsparse_index_base_,comdat
	.globl	_ZN9rocsparseL23sddmm_ell_sample_kernelILi16ELi32EdldEEvT2_S1_PKT3_lS1_PS2_PKS1_21rocsparse_index_base_ ; -- Begin function _ZN9rocsparseL23sddmm_ell_sample_kernelILi16ELi32EdldEEvT2_S1_PKT3_lS1_PS2_PKS1_21rocsparse_index_base_
	.p2align	8
	.type	_ZN9rocsparseL23sddmm_ell_sample_kernelILi16ELi32EdldEEvT2_S1_PKT3_lS1_PS2_PKS1_21rocsparse_index_base_,@function
_ZN9rocsparseL23sddmm_ell_sample_kernelILi16ELi32EdldEEvT2_S1_PKT3_lS1_PS2_PKS1_21rocsparse_index_base_: ; @_ZN9rocsparseL23sddmm_ell_sample_kernelILi16ELi32EdldEEvT2_S1_PKT3_lS1_PS2_PKS1_21rocsparse_index_base_
; %bb.0:
	s_load_b128 s[8:11], s[0:1], 0x18
	v_lshrrev_b32_e32 v2, 5, v0
	v_mov_b32_e32 v1, 0
	s_mov_b32 s2, exec_lo
	s_delay_alu instid0(VALU_DEP_2) | instskip(NEXT) | instid1(VALU_DEP_2)
	v_lshl_or_b32 v2, s15, 4, v2
	v_mov_b32_e32 v3, v1
	s_waitcnt lgkmcnt(0)
	s_delay_alu instid0(VALU_DEP_1)
	v_cmpx_gt_i64_e64 s[10:11], v[2:3]
	s_cbranch_execz .LBB42_6
; %bb.1:
	s_load_b128 s[4:7], s[0:1], 0x0
	v_and_b32_e32 v0, 31, v0
	s_waitcnt lgkmcnt(0)
	s_delay_alu instid0(VALU_DEP_1)
	v_cmp_gt_i64_e32 vcc_lo, s[4:5], v[0:1]
	s_and_b32 exec_lo, exec_lo, vcc_lo
	s_cbranch_execz .LBB42_6
; %bb.2:
	v_mad_u64_u32 v[3:4], null, v2, s4, v[0:1]
	s_clause 0x2
	s_load_b128 s[12:15], s[0:1], 0x28
	s_load_b64 s[2:3], s[0:1], 0x10
	s_load_b32 s1, s[0:1], 0x38
	s_mov_b32 s10, 0
	s_delay_alu instid0(VALU_DEP_1) | instskip(SKIP_1) | instid1(VALU_DEP_2)
	v_mad_u64_u32 v[5:6], null, v2, s5, v[4:5]
	v_lshlrev_b32_e32 v6, 3, v0
	v_mov_b32_e32 v4, v5
	s_delay_alu instid0(VALU_DEP_1) | instskip(SKIP_1) | instid1(VALU_DEP_3)
	v_lshlrev_b64 v[4:5], 3, v[3:4]
	s_waitcnt lgkmcnt(0)
	v_add_co_u32 v6, s0, s2, v6
	s_delay_alu instid0(VALU_DEP_1) | instskip(NEXT) | instid1(VALU_DEP_3)
	v_add_co_ci_u32_e64 v7, null, s3, 0, s0
	v_add_co_u32 v2, vcc_lo, s14, v4
	s_delay_alu instid0(VALU_DEP_4)
	v_add_co_ci_u32_e32 v3, vcc_lo, s15, v5, vcc_lo
	v_add_co_u32 v4, vcc_lo, s12, v4
	v_add_co_ci_u32_e32 v5, vcc_lo, s13, v5, vcc_lo
	s_lshl_b64 s[2:3], s[8:9], 3
	s_set_inst_prefetch_distance 0x1
	s_branch .LBB42_4
	.p2align	6
.LBB42_3:                               ;   in Loop: Header=BB42_4 Depth=1
	s_or_b32 exec_lo, exec_lo, s0
	v_add_co_u32 v0, vcc_lo, v0, 32
	v_add_co_ci_u32_e32 v1, vcc_lo, 0, v1, vcc_lo
	v_add_co_u32 v2, vcc_lo, 0x100, v2
	v_add_co_ci_u32_e32 v3, vcc_lo, 0, v3, vcc_lo
	;; [unrolled: 2-line block ×3, first 2 shown]
	v_cmp_le_i64_e32 vcc_lo, s[4:5], v[0:1]
	v_add_co_u32 v6, s0, 0x100, v6
	s_delay_alu instid0(VALU_DEP_1) | instskip(SKIP_1) | instid1(SALU_CYCLE_1)
	v_add_co_ci_u32_e64 v7, s0, 0, v7, s0
	s_or_b32 s10, vcc_lo, s10
	s_and_not1_b32 exec_lo, exec_lo, s10
	s_cbranch_execz .LBB42_6
.LBB42_4:                               ; =>This Inner Loop Header: Depth=1
	global_load_b64 v[8:9], v[2:3], off
	s_waitcnt vmcnt(0)
	v_sub_co_u32 v8, vcc_lo, v8, s1
	v_subrev_co_ci_u32_e32 v9, vcc_lo, 0, v9, vcc_lo
	s_delay_alu instid0(VALU_DEP_1) | instskip(SKIP_1) | instid1(VALU_DEP_1)
	v_cmp_lt_i64_e32 vcc_lo, -1, v[8:9]
	v_cmp_gt_i64_e64 s0, s[6:7], v[8:9]
	s_and_b32 s8, vcc_lo, s0
	s_delay_alu instid0(SALU_CYCLE_1)
	s_and_saveexec_b32 s0, s8
	s_cbranch_execz .LBB42_3
; %bb.5:                                ;   in Loop: Header=BB42_4 Depth=1
	v_mad_u64_u32 v[10:11], null, s2, v8, v[6:7]
	v_mul_lo_u32 v9, s2, v9
	v_mul_lo_u32 v8, s3, v8
	s_delay_alu instid0(VALU_DEP_1)
	v_add3_u32 v11, v8, v11, v9
	global_load_b64 v[8:9], v[10:11], off
	s_waitcnt vmcnt(0)
	global_store_b64 v[4:5], v[8:9], off
	s_branch .LBB42_3
.LBB42_6:
	s_set_inst_prefetch_distance 0x2
	s_nop 0
	s_sendmsg sendmsg(MSG_DEALLOC_VGPRS)
	s_endpgm
	.section	.rodata,"a",@progbits
	.p2align	6, 0x0
	.amdhsa_kernel _ZN9rocsparseL23sddmm_ell_sample_kernelILi16ELi32EdldEEvT2_S1_PKT3_lS1_PS2_PKS1_21rocsparse_index_base_
		.amdhsa_group_segment_fixed_size 0
		.amdhsa_private_segment_fixed_size 0
		.amdhsa_kernarg_size 60
		.amdhsa_user_sgpr_count 15
		.amdhsa_user_sgpr_dispatch_ptr 0
		.amdhsa_user_sgpr_queue_ptr 0
		.amdhsa_user_sgpr_kernarg_segment_ptr 1
		.amdhsa_user_sgpr_dispatch_id 0
		.amdhsa_user_sgpr_private_segment_size 0
		.amdhsa_wavefront_size32 1
		.amdhsa_uses_dynamic_stack 0
		.amdhsa_enable_private_segment 0
		.amdhsa_system_sgpr_workgroup_id_x 1
		.amdhsa_system_sgpr_workgroup_id_y 0
		.amdhsa_system_sgpr_workgroup_id_z 0
		.amdhsa_system_sgpr_workgroup_info 0
		.amdhsa_system_vgpr_workitem_id 0
		.amdhsa_next_free_vgpr 12
		.amdhsa_next_free_sgpr 16
		.amdhsa_reserve_vcc 1
		.amdhsa_float_round_mode_32 0
		.amdhsa_float_round_mode_16_64 0
		.amdhsa_float_denorm_mode_32 3
		.amdhsa_float_denorm_mode_16_64 3
		.amdhsa_dx10_clamp 1
		.amdhsa_ieee_mode 1
		.amdhsa_fp16_overflow 0
		.amdhsa_workgroup_processor_mode 1
		.amdhsa_memory_ordered 1
		.amdhsa_forward_progress 0
		.amdhsa_shared_vgpr_count 0
		.amdhsa_exception_fp_ieee_invalid_op 0
		.amdhsa_exception_fp_denorm_src 0
		.amdhsa_exception_fp_ieee_div_zero 0
		.amdhsa_exception_fp_ieee_overflow 0
		.amdhsa_exception_fp_ieee_underflow 0
		.amdhsa_exception_fp_ieee_inexact 0
		.amdhsa_exception_int_div_zero 0
	.end_amdhsa_kernel
	.section	.text._ZN9rocsparseL23sddmm_ell_sample_kernelILi16ELi32EdldEEvT2_S1_PKT3_lS1_PS2_PKS1_21rocsparse_index_base_,"axG",@progbits,_ZN9rocsparseL23sddmm_ell_sample_kernelILi16ELi32EdldEEvT2_S1_PKT3_lS1_PS2_PKS1_21rocsparse_index_base_,comdat
.Lfunc_end42:
	.size	_ZN9rocsparseL23sddmm_ell_sample_kernelILi16ELi32EdldEEvT2_S1_PKT3_lS1_PS2_PKS1_21rocsparse_index_base_, .Lfunc_end42-_ZN9rocsparseL23sddmm_ell_sample_kernelILi16ELi32EdldEEvT2_S1_PKT3_lS1_PS2_PKS1_21rocsparse_index_base_
                                        ; -- End function
	.section	.AMDGPU.csdata,"",@progbits
; Kernel info:
; codeLenInByte = 444
; NumSgprs: 18
; NumVgprs: 12
; ScratchSize: 0
; MemoryBound: 0
; FloatMode: 240
; IeeeMode: 1
; LDSByteSize: 0 bytes/workgroup (compile time only)
; SGPRBlocks: 2
; VGPRBlocks: 1
; NumSGPRsForWavesPerEU: 18
; NumVGPRsForWavesPerEU: 12
; Occupancy: 16
; WaveLimiterHint : 1
; COMPUTE_PGM_RSRC2:SCRATCH_EN: 0
; COMPUTE_PGM_RSRC2:USER_SGPR: 15
; COMPUTE_PGM_RSRC2:TRAP_HANDLER: 0
; COMPUTE_PGM_RSRC2:TGID_X_EN: 1
; COMPUTE_PGM_RSRC2:TGID_Y_EN: 0
; COMPUTE_PGM_RSRC2:TGID_Z_EN: 0
; COMPUTE_PGM_RSRC2:TIDIG_COMP_CNT: 0
	.section	.text._ZN9rocsparseL23sddmm_ell_sample_kernelILi16ELi64EdldEEvT2_S1_PKT3_lS1_PS2_PKS1_21rocsparse_index_base_,"axG",@progbits,_ZN9rocsparseL23sddmm_ell_sample_kernelILi16ELi64EdldEEvT2_S1_PKT3_lS1_PS2_PKS1_21rocsparse_index_base_,comdat
	.globl	_ZN9rocsparseL23sddmm_ell_sample_kernelILi16ELi64EdldEEvT2_S1_PKT3_lS1_PS2_PKS1_21rocsparse_index_base_ ; -- Begin function _ZN9rocsparseL23sddmm_ell_sample_kernelILi16ELi64EdldEEvT2_S1_PKT3_lS1_PS2_PKS1_21rocsparse_index_base_
	.p2align	8
	.type	_ZN9rocsparseL23sddmm_ell_sample_kernelILi16ELi64EdldEEvT2_S1_PKT3_lS1_PS2_PKS1_21rocsparse_index_base_,@function
_ZN9rocsparseL23sddmm_ell_sample_kernelILi16ELi64EdldEEvT2_S1_PKT3_lS1_PS2_PKS1_21rocsparse_index_base_: ; @_ZN9rocsparseL23sddmm_ell_sample_kernelILi16ELi64EdldEEvT2_S1_PKT3_lS1_PS2_PKS1_21rocsparse_index_base_
; %bb.0:
	s_load_b128 s[8:11], s[0:1], 0x18
	v_lshrrev_b32_e32 v2, 6, v0
	v_mov_b32_e32 v1, 0
	s_mov_b32 s2, exec_lo
	s_delay_alu instid0(VALU_DEP_2) | instskip(NEXT) | instid1(VALU_DEP_2)
	v_lshl_or_b32 v2, s15, 4, v2
	v_mov_b32_e32 v3, v1
	s_waitcnt lgkmcnt(0)
	s_delay_alu instid0(VALU_DEP_1)
	v_cmpx_gt_i64_e64 s[10:11], v[2:3]
	s_cbranch_execz .LBB43_6
; %bb.1:
	s_load_b128 s[4:7], s[0:1], 0x0
	v_and_b32_e32 v0, 63, v0
	s_waitcnt lgkmcnt(0)
	s_delay_alu instid0(VALU_DEP_1)
	v_cmp_gt_i64_e32 vcc_lo, s[4:5], v[0:1]
	s_and_b32 exec_lo, exec_lo, vcc_lo
	s_cbranch_execz .LBB43_6
; %bb.2:
	v_mad_u64_u32 v[3:4], null, v2, s4, v[0:1]
	s_clause 0x2
	s_load_b128 s[12:15], s[0:1], 0x28
	s_load_b64 s[2:3], s[0:1], 0x10
	s_load_b32 s1, s[0:1], 0x38
	s_mov_b32 s10, 0
	s_delay_alu instid0(VALU_DEP_1) | instskip(SKIP_1) | instid1(VALU_DEP_2)
	v_mad_u64_u32 v[5:6], null, v2, s5, v[4:5]
	v_lshlrev_b32_e32 v6, 3, v0
	v_mov_b32_e32 v4, v5
	s_delay_alu instid0(VALU_DEP_1) | instskip(SKIP_1) | instid1(VALU_DEP_3)
	v_lshlrev_b64 v[4:5], 3, v[3:4]
	s_waitcnt lgkmcnt(0)
	v_add_co_u32 v6, s0, s2, v6
	s_delay_alu instid0(VALU_DEP_1) | instskip(NEXT) | instid1(VALU_DEP_3)
	v_add_co_ci_u32_e64 v7, null, s3, 0, s0
	v_add_co_u32 v2, vcc_lo, s14, v4
	s_delay_alu instid0(VALU_DEP_4)
	v_add_co_ci_u32_e32 v3, vcc_lo, s15, v5, vcc_lo
	v_add_co_u32 v4, vcc_lo, s12, v4
	v_add_co_ci_u32_e32 v5, vcc_lo, s13, v5, vcc_lo
	s_lshl_b64 s[2:3], s[8:9], 3
	s_set_inst_prefetch_distance 0x1
	s_branch .LBB43_4
	.p2align	6
.LBB43_3:                               ;   in Loop: Header=BB43_4 Depth=1
	s_or_b32 exec_lo, exec_lo, s0
	v_add_co_u32 v0, vcc_lo, v0, 64
	v_add_co_ci_u32_e32 v1, vcc_lo, 0, v1, vcc_lo
	v_add_co_u32 v2, vcc_lo, 0x200, v2
	v_add_co_ci_u32_e32 v3, vcc_lo, 0, v3, vcc_lo
	;; [unrolled: 2-line block ×3, first 2 shown]
	v_cmp_le_i64_e32 vcc_lo, s[4:5], v[0:1]
	v_add_co_u32 v6, s0, 0x200, v6
	s_delay_alu instid0(VALU_DEP_1) | instskip(SKIP_1) | instid1(SALU_CYCLE_1)
	v_add_co_ci_u32_e64 v7, s0, 0, v7, s0
	s_or_b32 s10, vcc_lo, s10
	s_and_not1_b32 exec_lo, exec_lo, s10
	s_cbranch_execz .LBB43_6
.LBB43_4:                               ; =>This Inner Loop Header: Depth=1
	global_load_b64 v[8:9], v[2:3], off
	s_waitcnt vmcnt(0)
	v_sub_co_u32 v8, vcc_lo, v8, s1
	v_subrev_co_ci_u32_e32 v9, vcc_lo, 0, v9, vcc_lo
	s_delay_alu instid0(VALU_DEP_1) | instskip(SKIP_1) | instid1(VALU_DEP_1)
	v_cmp_lt_i64_e32 vcc_lo, -1, v[8:9]
	v_cmp_gt_i64_e64 s0, s[6:7], v[8:9]
	s_and_b32 s8, vcc_lo, s0
	s_delay_alu instid0(SALU_CYCLE_1)
	s_and_saveexec_b32 s0, s8
	s_cbranch_execz .LBB43_3
; %bb.5:                                ;   in Loop: Header=BB43_4 Depth=1
	v_mad_u64_u32 v[10:11], null, s2, v8, v[6:7]
	v_mul_lo_u32 v9, s2, v9
	v_mul_lo_u32 v8, s3, v8
	s_delay_alu instid0(VALU_DEP_1)
	v_add3_u32 v11, v8, v11, v9
	global_load_b64 v[8:9], v[10:11], off
	s_waitcnt vmcnt(0)
	global_store_b64 v[4:5], v[8:9], off
	s_branch .LBB43_3
.LBB43_6:
	s_set_inst_prefetch_distance 0x2
	s_nop 0
	s_sendmsg sendmsg(MSG_DEALLOC_VGPRS)
	s_endpgm
	.section	.rodata,"a",@progbits
	.p2align	6, 0x0
	.amdhsa_kernel _ZN9rocsparseL23sddmm_ell_sample_kernelILi16ELi64EdldEEvT2_S1_PKT3_lS1_PS2_PKS1_21rocsparse_index_base_
		.amdhsa_group_segment_fixed_size 0
		.amdhsa_private_segment_fixed_size 0
		.amdhsa_kernarg_size 60
		.amdhsa_user_sgpr_count 15
		.amdhsa_user_sgpr_dispatch_ptr 0
		.amdhsa_user_sgpr_queue_ptr 0
		.amdhsa_user_sgpr_kernarg_segment_ptr 1
		.amdhsa_user_sgpr_dispatch_id 0
		.amdhsa_user_sgpr_private_segment_size 0
		.amdhsa_wavefront_size32 1
		.amdhsa_uses_dynamic_stack 0
		.amdhsa_enable_private_segment 0
		.amdhsa_system_sgpr_workgroup_id_x 1
		.amdhsa_system_sgpr_workgroup_id_y 0
		.amdhsa_system_sgpr_workgroup_id_z 0
		.amdhsa_system_sgpr_workgroup_info 0
		.amdhsa_system_vgpr_workitem_id 0
		.amdhsa_next_free_vgpr 12
		.amdhsa_next_free_sgpr 16
		.amdhsa_reserve_vcc 1
		.amdhsa_float_round_mode_32 0
		.amdhsa_float_round_mode_16_64 0
		.amdhsa_float_denorm_mode_32 3
		.amdhsa_float_denorm_mode_16_64 3
		.amdhsa_dx10_clamp 1
		.amdhsa_ieee_mode 1
		.amdhsa_fp16_overflow 0
		.amdhsa_workgroup_processor_mode 1
		.amdhsa_memory_ordered 1
		.amdhsa_forward_progress 0
		.amdhsa_shared_vgpr_count 0
		.amdhsa_exception_fp_ieee_invalid_op 0
		.amdhsa_exception_fp_denorm_src 0
		.amdhsa_exception_fp_ieee_div_zero 0
		.amdhsa_exception_fp_ieee_overflow 0
		.amdhsa_exception_fp_ieee_underflow 0
		.amdhsa_exception_fp_ieee_inexact 0
		.amdhsa_exception_int_div_zero 0
	.end_amdhsa_kernel
	.section	.text._ZN9rocsparseL23sddmm_ell_sample_kernelILi16ELi64EdldEEvT2_S1_PKT3_lS1_PS2_PKS1_21rocsparse_index_base_,"axG",@progbits,_ZN9rocsparseL23sddmm_ell_sample_kernelILi16ELi64EdldEEvT2_S1_PKT3_lS1_PS2_PKS1_21rocsparse_index_base_,comdat
.Lfunc_end43:
	.size	_ZN9rocsparseL23sddmm_ell_sample_kernelILi16ELi64EdldEEvT2_S1_PKT3_lS1_PS2_PKS1_21rocsparse_index_base_, .Lfunc_end43-_ZN9rocsparseL23sddmm_ell_sample_kernelILi16ELi64EdldEEvT2_S1_PKT3_lS1_PS2_PKS1_21rocsparse_index_base_
                                        ; -- End function
	.section	.AMDGPU.csdata,"",@progbits
; Kernel info:
; codeLenInByte = 444
; NumSgprs: 18
; NumVgprs: 12
; ScratchSize: 0
; MemoryBound: 0
; FloatMode: 240
; IeeeMode: 1
; LDSByteSize: 0 bytes/workgroup (compile time only)
; SGPRBlocks: 2
; VGPRBlocks: 1
; NumSGPRsForWavesPerEU: 18
; NumVGPRsForWavesPerEU: 12
; Occupancy: 16
; WaveLimiterHint : 1
; COMPUTE_PGM_RSRC2:SCRATCH_EN: 0
; COMPUTE_PGM_RSRC2:USER_SGPR: 15
; COMPUTE_PGM_RSRC2:TRAP_HANDLER: 0
; COMPUTE_PGM_RSRC2:TGID_X_EN: 1
; COMPUTE_PGM_RSRC2:TGID_Y_EN: 0
; COMPUTE_PGM_RSRC2:TGID_Z_EN: 0
; COMPUTE_PGM_RSRC2:TIDIG_COMP_CNT: 0
	.section	.text._ZN9rocsparseL16sddmm_ell_kernelILi512ELi8EdlldddEEv20rocsparse_operation_S1_16rocsparse_order_S2_T3_S3_S3_T2_NS_24const_host_device_scalarIT1_EEPKT4_lPKT5_lS7_PT6_PKS3_21rocsparse_index_base_b,"axG",@progbits,_ZN9rocsparseL16sddmm_ell_kernelILi512ELi8EdlldddEEv20rocsparse_operation_S1_16rocsparse_order_S2_T3_S3_S3_T2_NS_24const_host_device_scalarIT1_EEPKT4_lPKT5_lS7_PT6_PKS3_21rocsparse_index_base_b,comdat
	.globl	_ZN9rocsparseL16sddmm_ell_kernelILi512ELi8EdlldddEEv20rocsparse_operation_S1_16rocsparse_order_S2_T3_S3_S3_T2_NS_24const_host_device_scalarIT1_EEPKT4_lPKT5_lS7_PT6_PKS3_21rocsparse_index_base_b ; -- Begin function _ZN9rocsparseL16sddmm_ell_kernelILi512ELi8EdlldddEEv20rocsparse_operation_S1_16rocsparse_order_S2_T3_S3_S3_T2_NS_24const_host_device_scalarIT1_EEPKT4_lPKT5_lS7_PT6_PKS3_21rocsparse_index_base_b
	.p2align	8
	.type	_ZN9rocsparseL16sddmm_ell_kernelILi512ELi8EdlldddEEv20rocsparse_operation_S1_16rocsparse_order_S2_T3_S3_S3_T2_NS_24const_host_device_scalarIT1_EEPKT4_lPKT5_lS7_PT6_PKS3_21rocsparse_index_base_b,@function
_ZN9rocsparseL16sddmm_ell_kernelILi512ELi8EdlldddEEv20rocsparse_operation_S1_16rocsparse_order_S2_T3_S3_S3_T2_NS_24const_host_device_scalarIT1_EEPKT4_lPKT5_lS7_PT6_PKS3_21rocsparse_index_base_b: ; @_ZN9rocsparseL16sddmm_ell_kernelILi512ELi8EdlldddEEv20rocsparse_operation_S1_16rocsparse_order_S2_T3_S3_S3_T2_NS_24const_host_device_scalarIT1_EEPKT4_lPKT5_lS7_PT6_PKS3_21rocsparse_index_base_b
; %bb.0:
	s_clause 0x2
	s_load_b64 s[12:13], s[0:1], 0x70
	s_load_b64 s[2:3], s[0:1], 0x30
	s_load_b128 s[8:11], s[0:1], 0x50
	s_waitcnt lgkmcnt(0)
	s_bitcmp1_b32 s13, 0
	v_dual_mov_b32 v1, s2 :: v_dual_mov_b32 v2, s3
	s_cselect_b32 s4, -1, 0
	s_delay_alu instid0(SALU_CYCLE_1)
	s_and_b32 vcc_lo, exec_lo, s4
	s_xor_b32 s4, s4, -1
	s_cbranch_vccnz .LBB44_2
; %bb.1:
	v_dual_mov_b32 v1, s2 :: v_dual_mov_b32 v2, s3
	flat_load_b64 v[1:2], v[1:2]
.LBB44_2:
	v_dual_mov_b32 v3, s10 :: v_dual_mov_b32 v4, s11
	s_and_not1_b32 vcc_lo, exec_lo, s4
	s_cbranch_vccnz .LBB44_4
; %bb.3:
	v_dual_mov_b32 v3, s10 :: v_dual_mov_b32 v4, s11
	flat_load_b64 v[3:4], v[3:4]
.LBB44_4:
	s_waitcnt vmcnt(0) lgkmcnt(0)
	v_cmp_neq_f64_e32 vcc_lo, 0, v[1:2]
	v_cmp_neq_f64_e64 s2, 1.0, v[3:4]
	s_delay_alu instid0(VALU_DEP_1) | instskip(NEXT) | instid1(SALU_CYCLE_1)
	s_or_b32 s2, vcc_lo, s2
	s_and_saveexec_b32 s3, s2
	s_cbranch_execz .LBB44_39
; %bb.5:
	s_load_b128 s[4:7], s[0:1], 0x20
	v_lshrrev_b32_e32 v17, 3, v0
	v_mov_b32_e32 v6, 0
	s_delay_alu instid0(VALU_DEP_2) | instskip(SKIP_1) | instid1(VALU_DEP_1)
	v_lshl_or_b32 v5, s15, 6, v17
	s_waitcnt lgkmcnt(0)
	v_cmp_gt_i64_e32 vcc_lo, s[6:7], v[5:6]
	s_and_b32 exec_lo, exec_lo, vcc_lo
	s_cbranch_execz .LBB44_39
; %bb.6:
	s_clause 0x1
	s_load_b64 s[10:11], s[0:1], 0x10
	s_load_b64 s[6:7], s[0:1], 0x68
	s_mov_b32 s2, 0
                                        ; implicit-def: $vgpr11_vgpr12
	s_waitcnt lgkmcnt(0)
	s_mov_b32 s3, s11
	s_delay_alu instid0(SALU_CYCLE_1) | instskip(SKIP_1) | instid1(SALU_CYCLE_1)
	s_cmp_lg_u64 s[2:3], 0
	s_cselect_b32 s2, -1, 0
	s_and_saveexec_b32 s3, s2
	s_delay_alu instid0(SALU_CYCLE_1)
	s_xor_b32 s3, exec_lo, s3
	s_cbranch_execz .LBB44_8
; %bb.7:
	s_ashr_i32 s14, s11, 31
	s_delay_alu instid0(SALU_CYCLE_1) | instskip(SKIP_2) | instid1(SALU_CYCLE_1)
	s_add_u32 s16, s10, s14
	s_mov_b32 s15, s14
	s_addc_u32 s17, s11, s14
	s_xor_b64 s[14:15], s[16:17], s[14:15]
	s_delay_alu instid0(SALU_CYCLE_1) | instskip(SKIP_3) | instid1(VALU_DEP_1)
	v_cvt_f32_u32_e32 v7, s14
	v_cvt_f32_u32_e32 v8, s15
	s_sub_u32 s2, 0, s14
	s_subb_u32 s11, 0, s15
	v_fmamk_f32 v7, v8, 0x4f800000, v7
	s_delay_alu instid0(VALU_DEP_1) | instskip(SKIP_2) | instid1(VALU_DEP_1)
	v_rcp_f32_e32 v7, v7
	s_waitcnt_depctr 0xfff
	v_mul_f32_e32 v7, 0x5f7ffffc, v7
	v_mul_f32_e32 v8, 0x2f800000, v7
	s_delay_alu instid0(VALU_DEP_1) | instskip(NEXT) | instid1(VALU_DEP_1)
	v_trunc_f32_e32 v8, v8
	v_fmamk_f32 v7, v8, 0xcf800000, v7
	v_cvt_u32_f32_e32 v8, v8
	s_delay_alu instid0(VALU_DEP_2) | instskip(NEXT) | instid1(VALU_DEP_2)
	v_cvt_u32_f32_e32 v7, v7
	v_mul_lo_u32 v9, s2, v8
	s_delay_alu instid0(VALU_DEP_2) | instskip(SKIP_1) | instid1(VALU_DEP_2)
	v_mul_hi_u32 v10, s2, v7
	v_mul_lo_u32 v11, s11, v7
	v_add_nc_u32_e32 v9, v10, v9
	v_mul_lo_u32 v10, s2, v7
	s_delay_alu instid0(VALU_DEP_2) | instskip(NEXT) | instid1(VALU_DEP_2)
	v_add_nc_u32_e32 v9, v9, v11
	v_mul_hi_u32 v11, v7, v10
	s_delay_alu instid0(VALU_DEP_2)
	v_mul_lo_u32 v12, v7, v9
	v_mul_hi_u32 v13, v7, v9
	v_mul_hi_u32 v14, v8, v10
	v_mul_lo_u32 v10, v8, v10
	v_mul_hi_u32 v15, v8, v9
	v_mul_lo_u32 v9, v8, v9
	v_add_co_u32 v11, vcc_lo, v11, v12
	v_add_co_ci_u32_e32 v12, vcc_lo, 0, v13, vcc_lo
	s_delay_alu instid0(VALU_DEP_2) | instskip(NEXT) | instid1(VALU_DEP_2)
	v_add_co_u32 v10, vcc_lo, v11, v10
	v_add_co_ci_u32_e32 v10, vcc_lo, v12, v14, vcc_lo
	v_add_co_ci_u32_e32 v11, vcc_lo, 0, v15, vcc_lo
	s_delay_alu instid0(VALU_DEP_2) | instskip(NEXT) | instid1(VALU_DEP_2)
	v_add_co_u32 v9, vcc_lo, v10, v9
	v_add_co_ci_u32_e32 v10, vcc_lo, 0, v11, vcc_lo
	s_delay_alu instid0(VALU_DEP_2) | instskip(NEXT) | instid1(VALU_DEP_2)
	v_add_co_u32 v7, vcc_lo, v7, v9
	v_add_co_ci_u32_e32 v8, vcc_lo, v8, v10, vcc_lo
	s_delay_alu instid0(VALU_DEP_2) | instskip(SKIP_1) | instid1(VALU_DEP_3)
	v_mul_hi_u32 v9, s2, v7
	v_mul_lo_u32 v11, s11, v7
	v_mul_lo_u32 v10, s2, v8
	s_delay_alu instid0(VALU_DEP_1) | instskip(SKIP_1) | instid1(VALU_DEP_2)
	v_add_nc_u32_e32 v9, v9, v10
	v_mul_lo_u32 v10, s2, v7
	v_add_nc_u32_e32 v9, v9, v11
	s_delay_alu instid0(VALU_DEP_2) | instskip(NEXT) | instid1(VALU_DEP_2)
	v_mul_hi_u32 v11, v7, v10
	v_mul_lo_u32 v12, v7, v9
	v_mul_hi_u32 v13, v7, v9
	v_mul_hi_u32 v14, v8, v10
	v_mul_lo_u32 v10, v8, v10
	v_mul_hi_u32 v15, v8, v9
	v_mul_lo_u32 v9, v8, v9
	v_add_co_u32 v11, vcc_lo, v11, v12
	v_add_co_ci_u32_e32 v12, vcc_lo, 0, v13, vcc_lo
	s_delay_alu instid0(VALU_DEP_2) | instskip(NEXT) | instid1(VALU_DEP_2)
	v_add_co_u32 v10, vcc_lo, v11, v10
	v_add_co_ci_u32_e32 v10, vcc_lo, v12, v14, vcc_lo
	v_add_co_ci_u32_e32 v11, vcc_lo, 0, v15, vcc_lo
	s_delay_alu instid0(VALU_DEP_2) | instskip(NEXT) | instid1(VALU_DEP_2)
	v_add_co_u32 v9, vcc_lo, v10, v9
	v_add_co_ci_u32_e32 v10, vcc_lo, 0, v11, vcc_lo
	s_delay_alu instid0(VALU_DEP_2) | instskip(NEXT) | instid1(VALU_DEP_2)
	v_add_co_u32 v11, vcc_lo, v7, v9
	v_add_co_ci_u32_e32 v13, vcc_lo, v8, v10, vcc_lo
	s_delay_alu instid0(VALU_DEP_2) | instskip(SKIP_1) | instid1(VALU_DEP_3)
	v_mul_hi_u32 v14, v5, v11
	v_mad_u64_u32 v[9:10], null, 0, v11, 0
	v_mad_u64_u32 v[7:8], null, v5, v13, 0
	;; [unrolled: 1-line block ×3, first 2 shown]
	s_delay_alu instid0(VALU_DEP_2) | instskip(NEXT) | instid1(VALU_DEP_3)
	v_add_co_u32 v7, vcc_lo, v14, v7
	v_add_co_ci_u32_e32 v8, vcc_lo, 0, v8, vcc_lo
	s_delay_alu instid0(VALU_DEP_2) | instskip(NEXT) | instid1(VALU_DEP_2)
	v_add_co_u32 v7, vcc_lo, v7, v9
	v_add_co_ci_u32_e32 v7, vcc_lo, v8, v10, vcc_lo
	v_add_co_ci_u32_e32 v8, vcc_lo, 0, v12, vcc_lo
	s_delay_alu instid0(VALU_DEP_2) | instskip(NEXT) | instid1(VALU_DEP_2)
	v_add_co_u32 v9, vcc_lo, v7, v11
	v_add_co_ci_u32_e32 v10, vcc_lo, 0, v8, vcc_lo
	s_delay_alu instid0(VALU_DEP_2) | instskip(SKIP_1) | instid1(VALU_DEP_3)
	v_mul_lo_u32 v11, s15, v9
	v_mad_u64_u32 v[7:8], null, s14, v9, 0
	v_mul_lo_u32 v9, s14, v10
	s_delay_alu instid0(VALU_DEP_2) | instskip(NEXT) | instid1(VALU_DEP_2)
	v_sub_co_u32 v7, vcc_lo, v5, v7
	v_add3_u32 v8, v8, v9, v11
	s_delay_alu instid0(VALU_DEP_1) | instskip(NEXT) | instid1(VALU_DEP_1)
	v_sub_nc_u32_e32 v9, 0, v8
	v_subrev_co_ci_u32_e64 v9, s2, s15, v9, vcc_lo
	v_sub_co_ci_u32_e32 v8, vcc_lo, 0, v8, vcc_lo
	v_sub_co_u32 v10, vcc_lo, v7, s14
	s_delay_alu instid0(VALU_DEP_1) | instskip(SKIP_3) | instid1(VALU_DEP_3)
	v_subrev_co_ci_u32_e64 v11, s2, 0, v9, vcc_lo
	v_cmp_le_u32_e64 s2, s14, v7
	v_subrev_co_ci_u32_e32 v9, vcc_lo, s15, v9, vcc_lo
	v_cmp_le_u32_e32 vcc_lo, s15, v8
	v_cndmask_b32_e64 v12, 0, -1, s2
	v_cmp_le_u32_e64 s2, s14, v10
	v_cndmask_b32_e64 v15, 0, -1, vcc_lo
	v_cmp_eq_u32_e32 vcc_lo, s15, v11
	s_delay_alu instid0(VALU_DEP_3) | instskip(SKIP_1) | instid1(VALU_DEP_1)
	v_cndmask_b32_e64 v13, 0, -1, s2
	v_cmp_le_u32_e64 s2, s15, v11
	v_cndmask_b32_e64 v14, 0, -1, s2
	v_cmp_eq_u32_e64 s2, s15, v8
	s_delay_alu instid0(VALU_DEP_2) | instskip(SKIP_2) | instid1(VALU_DEP_3)
	v_cndmask_b32_e32 v13, v14, v13, vcc_lo
	v_sub_co_u32 v14, vcc_lo, v10, s14
	v_subrev_co_ci_u32_e32 v9, vcc_lo, 0, v9, vcc_lo
	v_cmp_ne_u32_e32 vcc_lo, 0, v13
	v_cndmask_b32_e64 v12, v15, v12, s2
	s_delay_alu instid0(VALU_DEP_3) | instskip(NEXT) | instid1(VALU_DEP_2)
	v_dual_cndmask_b32 v9, v11, v9 :: v_dual_cndmask_b32 v10, v10, v14
	v_cmp_ne_u32_e32 vcc_lo, 0, v12
	s_delay_alu instid0(VALU_DEP_2) | instskip(NEXT) | instid1(VALU_DEP_1)
	v_dual_cndmask_b32 v7, v7, v10 :: v_dual_cndmask_b32 v8, v8, v9
	v_sub_co_u32 v11, vcc_lo, v7, 0
	s_delay_alu instid0(VALU_DEP_2)
	v_subrev_co_ci_u32_e32 v12, vcc_lo, 0, v8, vcc_lo
.LBB44_8:
	s_and_not1_saveexec_b32 s2, s3
	s_cbranch_execz .LBB44_10
; %bb.9:
	v_cvt_f32_u32_e32 v7, s10
	s_sub_i32 s3, 0, s10
	v_mov_b32_e32 v12, 0
	s_delay_alu instid0(VALU_DEP_2) | instskip(SKIP_2) | instid1(VALU_DEP_1)
	v_rcp_iflag_f32_e32 v7, v7
	s_waitcnt_depctr 0xfff
	v_mul_f32_e32 v7, 0x4f7ffffe, v7
	v_cvt_u32_f32_e32 v7, v7
	s_delay_alu instid0(VALU_DEP_1) | instskip(NEXT) | instid1(VALU_DEP_1)
	v_mul_lo_u32 v8, s3, v7
	v_mul_hi_u32 v8, v7, v8
	s_delay_alu instid0(VALU_DEP_1) | instskip(NEXT) | instid1(VALU_DEP_1)
	v_add_nc_u32_e32 v7, v7, v8
	v_mul_hi_u32 v7, v5, v7
	s_delay_alu instid0(VALU_DEP_1) | instskip(NEXT) | instid1(VALU_DEP_1)
	v_mul_lo_u32 v7, v7, s10
	v_sub_nc_u32_e32 v7, v5, v7
	s_delay_alu instid0(VALU_DEP_1) | instskip(SKIP_1) | instid1(VALU_DEP_2)
	v_subrev_nc_u32_e32 v8, s10, v7
	v_cmp_le_u32_e32 vcc_lo, s10, v7
	v_cndmask_b32_e32 v7, v7, v8, vcc_lo
	s_delay_alu instid0(VALU_DEP_1) | instskip(SKIP_1) | instid1(VALU_DEP_2)
	v_subrev_nc_u32_e32 v8, s10, v7
	v_cmp_le_u32_e32 vcc_lo, s10, v7
	v_cndmask_b32_e32 v11, v7, v8, vcc_lo
.LBB44_10:
	s_or_b32 exec_lo, exec_lo, s2
	v_lshlrev_b64 v[5:6], 3, v[5:6]
	s_delay_alu instid0(VALU_DEP_1) | instskip(NEXT) | instid1(VALU_DEP_2)
	v_add_co_u32 v7, vcc_lo, s6, v5
	v_add_co_ci_u32_e32 v8, vcc_lo, s7, v6, vcc_lo
	global_load_b64 v[7:8], v[7:8], off
	s_waitcnt vmcnt(0)
	v_sub_co_u32 v7, vcc_lo, v7, s12
	v_subrev_co_ci_u32_e32 v8, vcc_lo, 0, v8, vcc_lo
	s_delay_alu instid0(VALU_DEP_1)
	v_cmp_lt_i64_e32 vcc_lo, -1, v[7:8]
	s_and_b32 exec_lo, exec_lo, vcc_lo
	s_cbranch_execz .LBB44_39
; %bb.11:
	s_clause 0x1
	s_load_b128 s[12:15], s[0:1], 0x0
	s_load_b64 s[6:7], s[0:1], 0x40
	s_waitcnt lgkmcnt(0)
	s_cmp_eq_u32 s14, 1
	s_cselect_b32 s10, -1, 0
	s_cmpk_eq_i32 s12, 0x6f
	s_cselect_b32 s11, -1, 0
	s_cmpk_lg_i32 s12, 0x6f
	s_cselect_b32 s2, -1, 0
	s_cmp_lg_u32 s14, 1
	s_cbranch_scc0 .LBB44_15
; %bb.12:
	v_dual_mov_b32 v9, v11 :: v_dual_mov_b32 v10, v12
	s_and_not1_b32 vcc_lo, exec_lo, s11
	s_cbranch_vccnz .LBB44_14
; %bb.13:
	v_mul_lo_u32 v13, v12, s6
	v_mul_lo_u32 v14, v11, s7
	v_mad_u64_u32 v[9:10], null, v11, s6, 0
	s_delay_alu instid0(VALU_DEP_1)
	v_add3_u32 v10, v10, v14, v13
.LBB44_14:
	s_cbranch_execz .LBB44_16
	s_branch .LBB44_19
.LBB44_15:
                                        ; implicit-def: $vgpr9_vgpr10
.LBB44_16:
	s_and_not1_b32 vcc_lo, exec_lo, s2
	s_cbranch_vccnz .LBB44_18
; %bb.17:
	v_mul_lo_u32 v12, v12, s6
	v_mul_lo_u32 v13, v11, s7
	v_mad_u64_u32 v[9:10], null, v11, s6, 0
	s_delay_alu instid0(VALU_DEP_1) | instskip(NEXT) | instid1(VALU_DEP_1)
	v_add3_u32 v10, v10, v13, v12
	v_dual_mov_b32 v12, v10 :: v_dual_mov_b32 v11, v9
.LBB44_18:
	s_delay_alu instid0(VALU_DEP_1)
	v_dual_mov_b32 v9, v11 :: v_dual_mov_b32 v10, v12
.LBB44_19:
	s_cmp_eq_u32 s15, 1
	s_cselect_b32 s14, -1, 0
	s_cmpk_eq_i32 s13, 0x6f
	s_cselect_b32 s16, -1, 0
	s_cmpk_lg_i32 s13, 0x6f
	s_cselect_b32 s2, -1, 0
	s_cmp_lg_u32 s15, 1
	s_cbranch_scc0 .LBB44_23
; %bb.20:
	v_dual_mov_b32 v12, v8 :: v_dual_mov_b32 v11, v7
	s_and_not1_b32 vcc_lo, exec_lo, s2
	s_cbranch_vccnz .LBB44_22
; %bb.21:
	v_mul_lo_u32 v13, v8, s8
	v_mul_lo_u32 v14, v7, s9
	v_mad_u64_u32 v[11:12], null, v7, s8, 0
	s_delay_alu instid0(VALU_DEP_1)
	v_add3_u32 v12, v12, v14, v13
.LBB44_22:
	s_cbranch_execz .LBB44_24
	s_branch .LBB44_27
.LBB44_23:
                                        ; implicit-def: $vgpr11_vgpr12
.LBB44_24:
	s_and_not1_b32 vcc_lo, exec_lo, s16
	s_cbranch_vccnz .LBB44_26
; %bb.25:
	v_mul_lo_u32 v8, v8, s8
	v_mul_lo_u32 v13, v7, s9
	v_mad_u64_u32 v[11:12], null, v7, s8, 0
	s_delay_alu instid0(VALU_DEP_1) | instskip(NEXT) | instid1(VALU_DEP_1)
	v_add3_u32 v12, v12, v13, v8
	v_dual_mov_b32 v7, v11 :: v_dual_mov_b32 v8, v12
.LBB44_26:
	s_delay_alu instid0(VALU_DEP_1)
	v_dual_mov_b32 v12, v8 :: v_dual_mov_b32 v11, v7
.LBB44_27:
	s_load_b64 s[2:3], s[0:1], 0x60
	v_mov_b32_e32 v13, 0
	v_dual_mov_b32 v8, 0 :: v_dual_and_b32 v7, 7, v0
	v_mov_b32_e32 v14, 0
	s_mov_b32 s12, exec_lo
	s_delay_alu instid0(VALU_DEP_2)
	v_cmpx_gt_i64_e64 s[4:5], v[7:8]
	s_cbranch_execz .LBB44_31
; %bb.28:
	s_xor_b32 s10, s11, s10
	v_lshlrev_b64 v[9:10], 3, v[9:10]
	s_and_b32 s10, s10, exec_lo
	s_cselect_b32 s11, 0, s7
	s_cselect_b32 s10, 1, s6
	s_xor_b32 s6, s16, s14
	v_mad_u64_u32 v[13:14], null, s10, v7, 0
	s_and_b32 s6, s6, exec_lo
	s_cselect_b32 s6, s8, 1
	s_cselect_b32 s7, s9, 0
	v_mad_u64_u32 v[15:16], null, s6, v7, 0
	s_load_b64 s[8:9], s[0:1], 0x38
	s_delay_alu instid0(VALU_DEP_2) | instskip(SKIP_2) | instid1(VALU_DEP_3)
	v_mov_b32_e32 v0, v14
	s_load_b64 s[0:1], s[0:1], 0x48
	v_lshlrev_b64 v[11:12], 3, v[11:12]
	v_mov_b32_e32 v14, v16
	s_delay_alu instid0(VALU_DEP_3) | instskip(NEXT) | instid1(VALU_DEP_2)
	v_mad_u64_u32 v[18:19], null, s11, v7, v[0:1]
	v_mad_u64_u32 v[19:20], null, s7, v7, v[14:15]
	s_lshl_b64 s[6:7], s[6:7], 6
	s_delay_alu instid0(VALU_DEP_2) | instskip(NEXT) | instid1(VALU_DEP_2)
	v_mov_b32_e32 v14, v18
	v_mov_b32_e32 v16, v19
	s_delay_alu instid0(VALU_DEP_2) | instskip(SKIP_2) | instid1(VALU_DEP_4)
	v_lshlrev_b64 v[18:19], 3, v[13:14]
	v_mov_b32_e32 v13, 0
	v_mov_b32_e32 v14, 0
	v_lshlrev_b64 v[15:16], 3, v[15:16]
	s_delay_alu instid0(VALU_DEP_4) | instskip(SKIP_1) | instid1(VALU_DEP_3)
	v_add_co_u32 v0, vcc_lo, v18, v9
	v_add_co_ci_u32_e32 v10, vcc_lo, v19, v10, vcc_lo
	v_add_co_u32 v11, vcc_lo, v15, v11
	s_delay_alu instid0(VALU_DEP_4)
	v_add_co_ci_u32_e32 v12, vcc_lo, v16, v12, vcc_lo
	s_waitcnt lgkmcnt(0)
	v_add_co_u32 v9, vcc_lo, s8, v0
	v_add_co_ci_u32_e32 v10, vcc_lo, s9, v10, vcc_lo
	v_add_co_u32 v11, vcc_lo, s0, v11
	v_dual_mov_b32 v16, v8 :: v_dual_mov_b32 v15, v7
	v_add_co_ci_u32_e32 v12, vcc_lo, s1, v12, vcc_lo
	s_mov_b32 s1, 0
	s_lshl_b64 s[8:9], s[10:11], 6
	.p2align	6
.LBB44_29:                              ; =>This Inner Loop Header: Depth=1
	global_load_b64 v[18:19], v[9:10], off
	global_load_b64 v[20:21], v[11:12], off
	v_add_co_u32 v15, vcc_lo, v15, 8
	v_add_co_ci_u32_e32 v16, vcc_lo, 0, v16, vcc_lo
	v_add_co_u32 v11, vcc_lo, v11, s6
	v_add_co_ci_u32_e32 v12, vcc_lo, s7, v12, vcc_lo
	s_delay_alu instid0(VALU_DEP_3) | instskip(SKIP_1) | instid1(VALU_DEP_1)
	v_cmp_le_i64_e32 vcc_lo, s[4:5], v[15:16]
	v_add_co_u32 v9, s0, v9, s8
	v_add_co_ci_u32_e64 v10, s0, s9, v10, s0
	s_or_b32 s1, vcc_lo, s1
	s_waitcnt vmcnt(0)
	v_fma_f64 v[13:14], v[18:19], v[20:21], v[13:14]
	s_and_not1_b32 exec_lo, exec_lo, s1
	s_cbranch_execnz .LBB44_29
; %bb.30:
	s_or_b32 exec_lo, exec_lo, s1
.LBB44_31:
	s_delay_alu instid0(SALU_CYCLE_1) | instskip(SKIP_2) | instid1(VALU_DEP_1)
	s_or_b32 exec_lo, exec_lo, s12
	v_lshlrev_b32_e32 v0, 3, v7
	s_mov_b32 s0, exec_lo
	v_lshl_or_b32 v0, v17, 6, v0
	ds_store_b64 v0, v[13:14]
	s_waitcnt lgkmcnt(0)
	s_barrier
	buffer_gl0_inv
	v_cmpx_gt_u32_e32 4, v7
	s_cbranch_execz .LBB44_33
; %bb.32:
	ds_load_2addr_b64 v[8:11], v0 offset1:4
	s_waitcnt lgkmcnt(0)
	v_add_f64 v[8:9], v[10:11], v[8:9]
	ds_store_b64 v0, v[8:9]
.LBB44_33:
	s_or_b32 exec_lo, exec_lo, s0
	s_delay_alu instid0(SALU_CYCLE_1)
	s_mov_b32 s0, exec_lo
	s_waitcnt lgkmcnt(0)
	s_barrier
	buffer_gl0_inv
	v_cmpx_gt_u32_e32 2, v7
	s_cbranch_execz .LBB44_35
; %bb.34:
	ds_load_2addr_b64 v[8:11], v0 offset1:2
	s_waitcnt lgkmcnt(0)
	v_add_f64 v[8:9], v[10:11], v[8:9]
	ds_store_b64 v0, v[8:9]
.LBB44_35:
	s_or_b32 exec_lo, exec_lo, s0
	v_cmp_eq_u32_e32 vcc_lo, 0, v7
	v_lshlrev_b32_e32 v7, 6, v17
	s_waitcnt lgkmcnt(0)
	s_barrier
	buffer_gl0_inv
	s_and_saveexec_b32 s0, vcc_lo
	s_cbranch_execz .LBB44_37
; %bb.36:
	ds_load_b64 v[8:9], v7 offset:8
	ds_load_b64 v[10:11], v0
	s_waitcnt lgkmcnt(0)
	v_add_f64 v[8:9], v[8:9], v[10:11]
	ds_store_b64 v0, v[8:9]
.LBB44_37:
	s_or_b32 exec_lo, exec_lo, s0
	s_waitcnt lgkmcnt(0)
	s_barrier
	buffer_gl0_inv
	s_and_b32 exec_lo, exec_lo, vcc_lo
	s_cbranch_execz .LBB44_39
; %bb.38:
	v_add_co_u32 v5, vcc_lo, s2, v5
	v_add_co_ci_u32_e32 v6, vcc_lo, s3, v6, vcc_lo
	ds_load_b64 v[10:11], v7
	global_load_b64 v[8:9], v[5:6], off
	s_waitcnt lgkmcnt(0)
	v_mul_f64 v[0:1], v[1:2], v[10:11]
	s_waitcnt vmcnt(0)
	s_delay_alu instid0(VALU_DEP_1)
	v_fma_f64 v[0:1], v[3:4], v[8:9], v[0:1]
	global_store_b64 v[5:6], v[0:1], off
.LBB44_39:
	s_nop 0
	s_sendmsg sendmsg(MSG_DEALLOC_VGPRS)
	s_endpgm
	.section	.rodata,"a",@progbits
	.p2align	6, 0x0
	.amdhsa_kernel _ZN9rocsparseL16sddmm_ell_kernelILi512ELi8EdlldddEEv20rocsparse_operation_S1_16rocsparse_order_S2_T3_S3_S3_T2_NS_24const_host_device_scalarIT1_EEPKT4_lPKT5_lS7_PT6_PKS3_21rocsparse_index_base_b
		.amdhsa_group_segment_fixed_size 4096
		.amdhsa_private_segment_fixed_size 0
		.amdhsa_kernarg_size 120
		.amdhsa_user_sgpr_count 15
		.amdhsa_user_sgpr_dispatch_ptr 0
		.amdhsa_user_sgpr_queue_ptr 0
		.amdhsa_user_sgpr_kernarg_segment_ptr 1
		.amdhsa_user_sgpr_dispatch_id 0
		.amdhsa_user_sgpr_private_segment_size 0
		.amdhsa_wavefront_size32 1
		.amdhsa_uses_dynamic_stack 0
		.amdhsa_enable_private_segment 0
		.amdhsa_system_sgpr_workgroup_id_x 1
		.amdhsa_system_sgpr_workgroup_id_y 0
		.amdhsa_system_sgpr_workgroup_id_z 0
		.amdhsa_system_sgpr_workgroup_info 0
		.amdhsa_system_vgpr_workitem_id 0
		.amdhsa_next_free_vgpr 22
		.amdhsa_next_free_sgpr 18
		.amdhsa_reserve_vcc 1
		.amdhsa_float_round_mode_32 0
		.amdhsa_float_round_mode_16_64 0
		.amdhsa_float_denorm_mode_32 3
		.amdhsa_float_denorm_mode_16_64 3
		.amdhsa_dx10_clamp 1
		.amdhsa_ieee_mode 1
		.amdhsa_fp16_overflow 0
		.amdhsa_workgroup_processor_mode 1
		.amdhsa_memory_ordered 1
		.amdhsa_forward_progress 0
		.amdhsa_shared_vgpr_count 0
		.amdhsa_exception_fp_ieee_invalid_op 0
		.amdhsa_exception_fp_denorm_src 0
		.amdhsa_exception_fp_ieee_div_zero 0
		.amdhsa_exception_fp_ieee_overflow 0
		.amdhsa_exception_fp_ieee_underflow 0
		.amdhsa_exception_fp_ieee_inexact 0
		.amdhsa_exception_int_div_zero 0
	.end_amdhsa_kernel
	.section	.text._ZN9rocsparseL16sddmm_ell_kernelILi512ELi8EdlldddEEv20rocsparse_operation_S1_16rocsparse_order_S2_T3_S3_S3_T2_NS_24const_host_device_scalarIT1_EEPKT4_lPKT5_lS7_PT6_PKS3_21rocsparse_index_base_b,"axG",@progbits,_ZN9rocsparseL16sddmm_ell_kernelILi512ELi8EdlldddEEv20rocsparse_operation_S1_16rocsparse_order_S2_T3_S3_S3_T2_NS_24const_host_device_scalarIT1_EEPKT4_lPKT5_lS7_PT6_PKS3_21rocsparse_index_base_b,comdat
.Lfunc_end44:
	.size	_ZN9rocsparseL16sddmm_ell_kernelILi512ELi8EdlldddEEv20rocsparse_operation_S1_16rocsparse_order_S2_T3_S3_S3_T2_NS_24const_host_device_scalarIT1_EEPKT4_lPKT5_lS7_PT6_PKS3_21rocsparse_index_base_b, .Lfunc_end44-_ZN9rocsparseL16sddmm_ell_kernelILi512ELi8EdlldddEEv20rocsparse_operation_S1_16rocsparse_order_S2_T3_S3_S3_T2_NS_24const_host_device_scalarIT1_EEPKT4_lPKT5_lS7_PT6_PKS3_21rocsparse_index_base_b
                                        ; -- End function
	.section	.AMDGPU.csdata,"",@progbits
; Kernel info:
; codeLenInByte = 2256
; NumSgprs: 20
; NumVgprs: 22
; ScratchSize: 0
; MemoryBound: 0
; FloatMode: 240
; IeeeMode: 1
; LDSByteSize: 4096 bytes/workgroup (compile time only)
; SGPRBlocks: 2
; VGPRBlocks: 2
; NumSGPRsForWavesPerEU: 20
; NumVGPRsForWavesPerEU: 22
; Occupancy: 16
; WaveLimiterHint : 0
; COMPUTE_PGM_RSRC2:SCRATCH_EN: 0
; COMPUTE_PGM_RSRC2:USER_SGPR: 15
; COMPUTE_PGM_RSRC2:TRAP_HANDLER: 0
; COMPUTE_PGM_RSRC2:TGID_X_EN: 1
; COMPUTE_PGM_RSRC2:TGID_Y_EN: 0
; COMPUTE_PGM_RSRC2:TGID_Z_EN: 0
; COMPUTE_PGM_RSRC2:TIDIG_COMP_CNT: 0
	.section	.text._ZN9rocsparseL16sddmm_ell_kernelILi512ELi4EdlldddEEv20rocsparse_operation_S1_16rocsparse_order_S2_T3_S3_S3_T2_NS_24const_host_device_scalarIT1_EEPKT4_lPKT5_lS7_PT6_PKS3_21rocsparse_index_base_b,"axG",@progbits,_ZN9rocsparseL16sddmm_ell_kernelILi512ELi4EdlldddEEv20rocsparse_operation_S1_16rocsparse_order_S2_T3_S3_S3_T2_NS_24const_host_device_scalarIT1_EEPKT4_lPKT5_lS7_PT6_PKS3_21rocsparse_index_base_b,comdat
	.globl	_ZN9rocsparseL16sddmm_ell_kernelILi512ELi4EdlldddEEv20rocsparse_operation_S1_16rocsparse_order_S2_T3_S3_S3_T2_NS_24const_host_device_scalarIT1_EEPKT4_lPKT5_lS7_PT6_PKS3_21rocsparse_index_base_b ; -- Begin function _ZN9rocsparseL16sddmm_ell_kernelILi512ELi4EdlldddEEv20rocsparse_operation_S1_16rocsparse_order_S2_T3_S3_S3_T2_NS_24const_host_device_scalarIT1_EEPKT4_lPKT5_lS7_PT6_PKS3_21rocsparse_index_base_b
	.p2align	8
	.type	_ZN9rocsparseL16sddmm_ell_kernelILi512ELi4EdlldddEEv20rocsparse_operation_S1_16rocsparse_order_S2_T3_S3_S3_T2_NS_24const_host_device_scalarIT1_EEPKT4_lPKT5_lS7_PT6_PKS3_21rocsparse_index_base_b,@function
_ZN9rocsparseL16sddmm_ell_kernelILi512ELi4EdlldddEEv20rocsparse_operation_S1_16rocsparse_order_S2_T3_S3_S3_T2_NS_24const_host_device_scalarIT1_EEPKT4_lPKT5_lS7_PT6_PKS3_21rocsparse_index_base_b: ; @_ZN9rocsparseL16sddmm_ell_kernelILi512ELi4EdlldddEEv20rocsparse_operation_S1_16rocsparse_order_S2_T3_S3_S3_T2_NS_24const_host_device_scalarIT1_EEPKT4_lPKT5_lS7_PT6_PKS3_21rocsparse_index_base_b
; %bb.0:
	s_clause 0x2
	s_load_b64 s[12:13], s[0:1], 0x70
	s_load_b64 s[2:3], s[0:1], 0x30
	s_load_b128 s[8:11], s[0:1], 0x50
	s_waitcnt lgkmcnt(0)
	s_bitcmp1_b32 s13, 0
	v_dual_mov_b32 v1, s2 :: v_dual_mov_b32 v2, s3
	s_cselect_b32 s4, -1, 0
	s_delay_alu instid0(SALU_CYCLE_1)
	s_and_b32 vcc_lo, exec_lo, s4
	s_xor_b32 s4, s4, -1
	s_cbranch_vccnz .LBB45_2
; %bb.1:
	v_dual_mov_b32 v1, s2 :: v_dual_mov_b32 v2, s3
	flat_load_b64 v[1:2], v[1:2]
.LBB45_2:
	v_dual_mov_b32 v3, s10 :: v_dual_mov_b32 v4, s11
	s_and_not1_b32 vcc_lo, exec_lo, s4
	s_cbranch_vccnz .LBB45_4
; %bb.3:
	v_dual_mov_b32 v3, s10 :: v_dual_mov_b32 v4, s11
	flat_load_b64 v[3:4], v[3:4]
.LBB45_4:
	s_waitcnt vmcnt(0) lgkmcnt(0)
	v_cmp_neq_f64_e32 vcc_lo, 0, v[1:2]
	v_cmp_neq_f64_e64 s2, 1.0, v[3:4]
	s_delay_alu instid0(VALU_DEP_1) | instskip(NEXT) | instid1(SALU_CYCLE_1)
	s_or_b32 s2, vcc_lo, s2
	s_and_saveexec_b32 s3, s2
	s_cbranch_execz .LBB45_37
; %bb.5:
	s_load_b128 s[4:7], s[0:1], 0x20
	v_lshrrev_b32_e32 v17, 2, v0
	v_mov_b32_e32 v6, 0
	s_delay_alu instid0(VALU_DEP_2) | instskip(SKIP_1) | instid1(VALU_DEP_1)
	v_lshl_or_b32 v5, s15, 7, v17
	s_waitcnt lgkmcnt(0)
	v_cmp_gt_i64_e32 vcc_lo, s[6:7], v[5:6]
	s_and_b32 exec_lo, exec_lo, vcc_lo
	s_cbranch_execz .LBB45_37
; %bb.6:
	s_clause 0x1
	s_load_b64 s[10:11], s[0:1], 0x10
	s_load_b64 s[6:7], s[0:1], 0x68
	s_mov_b32 s2, 0
                                        ; implicit-def: $vgpr11_vgpr12
	s_waitcnt lgkmcnt(0)
	s_mov_b32 s3, s11
	s_delay_alu instid0(SALU_CYCLE_1) | instskip(SKIP_1) | instid1(SALU_CYCLE_1)
	s_cmp_lg_u64 s[2:3], 0
	s_cselect_b32 s2, -1, 0
	s_and_saveexec_b32 s3, s2
	s_delay_alu instid0(SALU_CYCLE_1)
	s_xor_b32 s3, exec_lo, s3
	s_cbranch_execz .LBB45_8
; %bb.7:
	s_ashr_i32 s14, s11, 31
	s_delay_alu instid0(SALU_CYCLE_1) | instskip(SKIP_2) | instid1(SALU_CYCLE_1)
	s_add_u32 s16, s10, s14
	s_mov_b32 s15, s14
	s_addc_u32 s17, s11, s14
	s_xor_b64 s[14:15], s[16:17], s[14:15]
	s_delay_alu instid0(SALU_CYCLE_1) | instskip(SKIP_3) | instid1(VALU_DEP_1)
	v_cvt_f32_u32_e32 v7, s14
	v_cvt_f32_u32_e32 v8, s15
	s_sub_u32 s2, 0, s14
	s_subb_u32 s11, 0, s15
	v_fmamk_f32 v7, v8, 0x4f800000, v7
	s_delay_alu instid0(VALU_DEP_1) | instskip(SKIP_2) | instid1(VALU_DEP_1)
	v_rcp_f32_e32 v7, v7
	s_waitcnt_depctr 0xfff
	v_mul_f32_e32 v7, 0x5f7ffffc, v7
	v_mul_f32_e32 v8, 0x2f800000, v7
	s_delay_alu instid0(VALU_DEP_1) | instskip(NEXT) | instid1(VALU_DEP_1)
	v_trunc_f32_e32 v8, v8
	v_fmamk_f32 v7, v8, 0xcf800000, v7
	v_cvt_u32_f32_e32 v8, v8
	s_delay_alu instid0(VALU_DEP_2) | instskip(NEXT) | instid1(VALU_DEP_2)
	v_cvt_u32_f32_e32 v7, v7
	v_mul_lo_u32 v9, s2, v8
	s_delay_alu instid0(VALU_DEP_2) | instskip(SKIP_1) | instid1(VALU_DEP_2)
	v_mul_hi_u32 v10, s2, v7
	v_mul_lo_u32 v11, s11, v7
	v_add_nc_u32_e32 v9, v10, v9
	v_mul_lo_u32 v10, s2, v7
	s_delay_alu instid0(VALU_DEP_2) | instskip(NEXT) | instid1(VALU_DEP_2)
	v_add_nc_u32_e32 v9, v9, v11
	v_mul_hi_u32 v11, v7, v10
	s_delay_alu instid0(VALU_DEP_2)
	v_mul_lo_u32 v12, v7, v9
	v_mul_hi_u32 v13, v7, v9
	v_mul_hi_u32 v14, v8, v10
	v_mul_lo_u32 v10, v8, v10
	v_mul_hi_u32 v15, v8, v9
	v_mul_lo_u32 v9, v8, v9
	v_add_co_u32 v11, vcc_lo, v11, v12
	v_add_co_ci_u32_e32 v12, vcc_lo, 0, v13, vcc_lo
	s_delay_alu instid0(VALU_DEP_2) | instskip(NEXT) | instid1(VALU_DEP_2)
	v_add_co_u32 v10, vcc_lo, v11, v10
	v_add_co_ci_u32_e32 v10, vcc_lo, v12, v14, vcc_lo
	v_add_co_ci_u32_e32 v11, vcc_lo, 0, v15, vcc_lo
	s_delay_alu instid0(VALU_DEP_2) | instskip(NEXT) | instid1(VALU_DEP_2)
	v_add_co_u32 v9, vcc_lo, v10, v9
	v_add_co_ci_u32_e32 v10, vcc_lo, 0, v11, vcc_lo
	s_delay_alu instid0(VALU_DEP_2) | instskip(NEXT) | instid1(VALU_DEP_2)
	v_add_co_u32 v7, vcc_lo, v7, v9
	v_add_co_ci_u32_e32 v8, vcc_lo, v8, v10, vcc_lo
	s_delay_alu instid0(VALU_DEP_2) | instskip(SKIP_1) | instid1(VALU_DEP_3)
	v_mul_hi_u32 v9, s2, v7
	v_mul_lo_u32 v11, s11, v7
	v_mul_lo_u32 v10, s2, v8
	s_delay_alu instid0(VALU_DEP_1) | instskip(SKIP_1) | instid1(VALU_DEP_2)
	v_add_nc_u32_e32 v9, v9, v10
	v_mul_lo_u32 v10, s2, v7
	v_add_nc_u32_e32 v9, v9, v11
	s_delay_alu instid0(VALU_DEP_2) | instskip(NEXT) | instid1(VALU_DEP_2)
	v_mul_hi_u32 v11, v7, v10
	v_mul_lo_u32 v12, v7, v9
	v_mul_hi_u32 v13, v7, v9
	v_mul_hi_u32 v14, v8, v10
	v_mul_lo_u32 v10, v8, v10
	v_mul_hi_u32 v15, v8, v9
	v_mul_lo_u32 v9, v8, v9
	v_add_co_u32 v11, vcc_lo, v11, v12
	v_add_co_ci_u32_e32 v12, vcc_lo, 0, v13, vcc_lo
	s_delay_alu instid0(VALU_DEP_2) | instskip(NEXT) | instid1(VALU_DEP_2)
	v_add_co_u32 v10, vcc_lo, v11, v10
	v_add_co_ci_u32_e32 v10, vcc_lo, v12, v14, vcc_lo
	v_add_co_ci_u32_e32 v11, vcc_lo, 0, v15, vcc_lo
	s_delay_alu instid0(VALU_DEP_2) | instskip(NEXT) | instid1(VALU_DEP_2)
	v_add_co_u32 v9, vcc_lo, v10, v9
	v_add_co_ci_u32_e32 v10, vcc_lo, 0, v11, vcc_lo
	s_delay_alu instid0(VALU_DEP_2) | instskip(NEXT) | instid1(VALU_DEP_2)
	v_add_co_u32 v11, vcc_lo, v7, v9
	v_add_co_ci_u32_e32 v13, vcc_lo, v8, v10, vcc_lo
	s_delay_alu instid0(VALU_DEP_2) | instskip(SKIP_1) | instid1(VALU_DEP_3)
	v_mul_hi_u32 v14, v5, v11
	v_mad_u64_u32 v[9:10], null, 0, v11, 0
	v_mad_u64_u32 v[7:8], null, v5, v13, 0
	;; [unrolled: 1-line block ×3, first 2 shown]
	s_delay_alu instid0(VALU_DEP_2) | instskip(NEXT) | instid1(VALU_DEP_3)
	v_add_co_u32 v7, vcc_lo, v14, v7
	v_add_co_ci_u32_e32 v8, vcc_lo, 0, v8, vcc_lo
	s_delay_alu instid0(VALU_DEP_2) | instskip(NEXT) | instid1(VALU_DEP_2)
	v_add_co_u32 v7, vcc_lo, v7, v9
	v_add_co_ci_u32_e32 v7, vcc_lo, v8, v10, vcc_lo
	v_add_co_ci_u32_e32 v8, vcc_lo, 0, v12, vcc_lo
	s_delay_alu instid0(VALU_DEP_2) | instskip(NEXT) | instid1(VALU_DEP_2)
	v_add_co_u32 v9, vcc_lo, v7, v11
	v_add_co_ci_u32_e32 v10, vcc_lo, 0, v8, vcc_lo
	s_delay_alu instid0(VALU_DEP_2) | instskip(SKIP_1) | instid1(VALU_DEP_3)
	v_mul_lo_u32 v11, s15, v9
	v_mad_u64_u32 v[7:8], null, s14, v9, 0
	v_mul_lo_u32 v9, s14, v10
	s_delay_alu instid0(VALU_DEP_2) | instskip(NEXT) | instid1(VALU_DEP_2)
	v_sub_co_u32 v7, vcc_lo, v5, v7
	v_add3_u32 v8, v8, v9, v11
	s_delay_alu instid0(VALU_DEP_1) | instskip(NEXT) | instid1(VALU_DEP_1)
	v_sub_nc_u32_e32 v9, 0, v8
	v_subrev_co_ci_u32_e64 v9, s2, s15, v9, vcc_lo
	v_sub_co_ci_u32_e32 v8, vcc_lo, 0, v8, vcc_lo
	v_sub_co_u32 v10, vcc_lo, v7, s14
	s_delay_alu instid0(VALU_DEP_1) | instskip(SKIP_3) | instid1(VALU_DEP_3)
	v_subrev_co_ci_u32_e64 v11, s2, 0, v9, vcc_lo
	v_cmp_le_u32_e64 s2, s14, v7
	v_subrev_co_ci_u32_e32 v9, vcc_lo, s15, v9, vcc_lo
	v_cmp_le_u32_e32 vcc_lo, s15, v8
	v_cndmask_b32_e64 v12, 0, -1, s2
	v_cmp_le_u32_e64 s2, s14, v10
	v_cndmask_b32_e64 v15, 0, -1, vcc_lo
	v_cmp_eq_u32_e32 vcc_lo, s15, v11
	s_delay_alu instid0(VALU_DEP_3) | instskip(SKIP_1) | instid1(VALU_DEP_1)
	v_cndmask_b32_e64 v13, 0, -1, s2
	v_cmp_le_u32_e64 s2, s15, v11
	v_cndmask_b32_e64 v14, 0, -1, s2
	v_cmp_eq_u32_e64 s2, s15, v8
	s_delay_alu instid0(VALU_DEP_2) | instskip(SKIP_2) | instid1(VALU_DEP_3)
	v_cndmask_b32_e32 v13, v14, v13, vcc_lo
	v_sub_co_u32 v14, vcc_lo, v10, s14
	v_subrev_co_ci_u32_e32 v9, vcc_lo, 0, v9, vcc_lo
	v_cmp_ne_u32_e32 vcc_lo, 0, v13
	v_cndmask_b32_e64 v12, v15, v12, s2
	s_delay_alu instid0(VALU_DEP_3) | instskip(NEXT) | instid1(VALU_DEP_2)
	v_dual_cndmask_b32 v9, v11, v9 :: v_dual_cndmask_b32 v10, v10, v14
	v_cmp_ne_u32_e32 vcc_lo, 0, v12
	s_delay_alu instid0(VALU_DEP_2) | instskip(NEXT) | instid1(VALU_DEP_1)
	v_dual_cndmask_b32 v7, v7, v10 :: v_dual_cndmask_b32 v8, v8, v9
	v_sub_co_u32 v11, vcc_lo, v7, 0
	s_delay_alu instid0(VALU_DEP_2)
	v_subrev_co_ci_u32_e32 v12, vcc_lo, 0, v8, vcc_lo
.LBB45_8:
	s_and_not1_saveexec_b32 s2, s3
	s_cbranch_execz .LBB45_10
; %bb.9:
	v_cvt_f32_u32_e32 v7, s10
	s_sub_i32 s3, 0, s10
	v_mov_b32_e32 v12, 0
	s_delay_alu instid0(VALU_DEP_2) | instskip(SKIP_2) | instid1(VALU_DEP_1)
	v_rcp_iflag_f32_e32 v7, v7
	s_waitcnt_depctr 0xfff
	v_mul_f32_e32 v7, 0x4f7ffffe, v7
	v_cvt_u32_f32_e32 v7, v7
	s_delay_alu instid0(VALU_DEP_1) | instskip(NEXT) | instid1(VALU_DEP_1)
	v_mul_lo_u32 v8, s3, v7
	v_mul_hi_u32 v8, v7, v8
	s_delay_alu instid0(VALU_DEP_1) | instskip(NEXT) | instid1(VALU_DEP_1)
	v_add_nc_u32_e32 v7, v7, v8
	v_mul_hi_u32 v7, v5, v7
	s_delay_alu instid0(VALU_DEP_1) | instskip(NEXT) | instid1(VALU_DEP_1)
	v_mul_lo_u32 v7, v7, s10
	v_sub_nc_u32_e32 v7, v5, v7
	s_delay_alu instid0(VALU_DEP_1) | instskip(SKIP_1) | instid1(VALU_DEP_2)
	v_subrev_nc_u32_e32 v8, s10, v7
	v_cmp_le_u32_e32 vcc_lo, s10, v7
	v_cndmask_b32_e32 v7, v7, v8, vcc_lo
	s_delay_alu instid0(VALU_DEP_1) | instskip(SKIP_1) | instid1(VALU_DEP_2)
	v_subrev_nc_u32_e32 v8, s10, v7
	v_cmp_le_u32_e32 vcc_lo, s10, v7
	v_cndmask_b32_e32 v11, v7, v8, vcc_lo
.LBB45_10:
	s_or_b32 exec_lo, exec_lo, s2
	v_lshlrev_b64 v[5:6], 3, v[5:6]
	s_delay_alu instid0(VALU_DEP_1) | instskip(NEXT) | instid1(VALU_DEP_2)
	v_add_co_u32 v7, vcc_lo, s6, v5
	v_add_co_ci_u32_e32 v8, vcc_lo, s7, v6, vcc_lo
	global_load_b64 v[7:8], v[7:8], off
	s_waitcnt vmcnt(0)
	v_sub_co_u32 v9, vcc_lo, v7, s12
	v_subrev_co_ci_u32_e32 v10, vcc_lo, 0, v8, vcc_lo
	s_delay_alu instid0(VALU_DEP_1)
	v_cmp_lt_i64_e32 vcc_lo, -1, v[9:10]
	s_and_b32 exec_lo, exec_lo, vcc_lo
	s_cbranch_execz .LBB45_37
; %bb.11:
	s_clause 0x1
	s_load_b128 s[12:15], s[0:1], 0x0
	s_load_b64 s[6:7], s[0:1], 0x40
	s_waitcnt lgkmcnt(0)
	s_cmp_eq_u32 s14, 1
	s_cselect_b32 s10, -1, 0
	s_cmpk_eq_i32 s12, 0x6f
	s_cselect_b32 s11, -1, 0
	s_cmpk_lg_i32 s12, 0x6f
	s_cselect_b32 s2, -1, 0
	s_cmp_lg_u32 s14, 1
	s_cbranch_scc0 .LBB45_15
; %bb.12:
	v_dual_mov_b32 v7, v11 :: v_dual_mov_b32 v8, v12
	s_and_not1_b32 vcc_lo, exec_lo, s11
	s_cbranch_vccnz .LBB45_14
; %bb.13:
	v_mul_lo_u32 v13, v12, s6
	v_mul_lo_u32 v14, v11, s7
	v_mad_u64_u32 v[7:8], null, v11, s6, 0
	s_delay_alu instid0(VALU_DEP_1)
	v_add3_u32 v8, v8, v14, v13
.LBB45_14:
	s_cbranch_execz .LBB45_16
	s_branch .LBB45_19
.LBB45_15:
                                        ; implicit-def: $vgpr7_vgpr8
.LBB45_16:
	s_and_not1_b32 vcc_lo, exec_lo, s2
	s_cbranch_vccnz .LBB45_18
; %bb.17:
	v_mul_lo_u32 v12, v12, s6
	v_mul_lo_u32 v13, v11, s7
	v_mad_u64_u32 v[7:8], null, v11, s6, 0
	s_delay_alu instid0(VALU_DEP_1) | instskip(NEXT) | instid1(VALU_DEP_1)
	v_add3_u32 v8, v8, v13, v12
	v_dual_mov_b32 v12, v8 :: v_dual_mov_b32 v11, v7
.LBB45_18:
	s_delay_alu instid0(VALU_DEP_1)
	v_dual_mov_b32 v7, v11 :: v_dual_mov_b32 v8, v12
.LBB45_19:
	s_cmp_eq_u32 s15, 1
	s_cselect_b32 s14, -1, 0
	s_cmpk_eq_i32 s13, 0x6f
	s_cselect_b32 s16, -1, 0
	s_cmpk_lg_i32 s13, 0x6f
	s_cselect_b32 s2, -1, 0
	s_cmp_lg_u32 s15, 1
	s_cbranch_scc0 .LBB45_23
; %bb.20:
	v_dual_mov_b32 v12, v10 :: v_dual_mov_b32 v11, v9
	s_and_not1_b32 vcc_lo, exec_lo, s2
	s_cbranch_vccnz .LBB45_22
; %bb.21:
	v_mul_lo_u32 v13, v10, s8
	v_mul_lo_u32 v14, v9, s9
	v_mad_u64_u32 v[11:12], null, v9, s8, 0
	s_delay_alu instid0(VALU_DEP_1)
	v_add3_u32 v12, v12, v14, v13
.LBB45_22:
	s_cbranch_execz .LBB45_24
	s_branch .LBB45_27
.LBB45_23:
                                        ; implicit-def: $vgpr11_vgpr12
.LBB45_24:
	s_and_not1_b32 vcc_lo, exec_lo, s16
	s_cbranch_vccnz .LBB45_26
; %bb.25:
	v_mul_lo_u32 v12, v10, s8
	v_mul_lo_u32 v13, v9, s9
	v_mad_u64_u32 v[10:11], null, v9, s8, 0
	s_delay_alu instid0(VALU_DEP_1) | instskip(NEXT) | instid1(VALU_DEP_2)
	v_add3_u32 v11, v11, v13, v12
	v_mov_b32_e32 v9, v10
	s_delay_alu instid0(VALU_DEP_2)
	v_mov_b32_e32 v10, v11
.LBB45_26:
	s_delay_alu instid0(VALU_DEP_1)
	v_dual_mov_b32 v12, v10 :: v_dual_mov_b32 v11, v9
.LBB45_27:
	s_load_b64 s[2:3], s[0:1], 0x60
	v_mov_b32_e32 v13, 0
	v_dual_mov_b32 v10, 0 :: v_dual_and_b32 v9, 3, v0
	v_mov_b32_e32 v14, 0
	s_mov_b32 s12, exec_lo
	s_delay_alu instid0(VALU_DEP_2)
	v_cmpx_gt_i64_e64 s[4:5], v[9:10]
	s_cbranch_execz .LBB45_31
; %bb.28:
	s_xor_b32 s10, s11, s10
	v_lshlrev_b64 v[7:8], 3, v[7:8]
	s_and_b32 s10, s10, exec_lo
	s_cselect_b32 s11, 0, s7
	s_cselect_b32 s10, 1, s6
	s_xor_b32 s6, s16, s14
	v_mad_u64_u32 v[13:14], null, s10, v9, 0
	s_and_b32 s6, s6, exec_lo
	s_cselect_b32 s6, s8, 1
	s_cselect_b32 s7, s9, 0
	v_mad_u64_u32 v[15:16], null, s6, v9, 0
	s_load_b64 s[8:9], s[0:1], 0x38
	s_delay_alu instid0(VALU_DEP_2) | instskip(SKIP_2) | instid1(VALU_DEP_3)
	v_mov_b32_e32 v0, v14
	s_load_b64 s[0:1], s[0:1], 0x48
	v_lshlrev_b64 v[11:12], 3, v[11:12]
	v_mov_b32_e32 v14, v16
	s_delay_alu instid0(VALU_DEP_3) | instskip(NEXT) | instid1(VALU_DEP_2)
	v_mad_u64_u32 v[18:19], null, s11, v9, v[0:1]
	v_mad_u64_u32 v[19:20], null, s7, v9, v[14:15]
	s_lshl_b64 s[6:7], s[6:7], 5
	s_delay_alu instid0(VALU_DEP_2) | instskip(NEXT) | instid1(VALU_DEP_2)
	v_mov_b32_e32 v14, v18
	v_mov_b32_e32 v16, v19
	s_delay_alu instid0(VALU_DEP_2) | instskip(SKIP_2) | instid1(VALU_DEP_4)
	v_lshlrev_b64 v[18:19], 3, v[13:14]
	v_mov_b32_e32 v13, 0
	v_mov_b32_e32 v14, 0
	v_lshlrev_b64 v[15:16], 3, v[15:16]
	s_delay_alu instid0(VALU_DEP_4) | instskip(SKIP_1) | instid1(VALU_DEP_3)
	v_add_co_u32 v0, vcc_lo, v18, v7
	v_add_co_ci_u32_e32 v8, vcc_lo, v19, v8, vcc_lo
	v_add_co_u32 v11, vcc_lo, v15, v11
	s_delay_alu instid0(VALU_DEP_4)
	v_add_co_ci_u32_e32 v12, vcc_lo, v16, v12, vcc_lo
	s_waitcnt lgkmcnt(0)
	v_add_co_u32 v7, vcc_lo, s8, v0
	v_add_co_ci_u32_e32 v8, vcc_lo, s9, v8, vcc_lo
	v_add_co_u32 v11, vcc_lo, s0, v11
	v_dual_mov_b32 v16, v10 :: v_dual_mov_b32 v15, v9
	v_add_co_ci_u32_e32 v12, vcc_lo, s1, v12, vcc_lo
	s_mov_b32 s1, 0
	s_lshl_b64 s[8:9], s[10:11], 5
	.p2align	6
.LBB45_29:                              ; =>This Inner Loop Header: Depth=1
	global_load_b64 v[18:19], v[7:8], off
	global_load_b64 v[20:21], v[11:12], off
	v_add_co_u32 v15, vcc_lo, v15, 4
	v_add_co_ci_u32_e32 v16, vcc_lo, 0, v16, vcc_lo
	v_add_co_u32 v11, vcc_lo, v11, s6
	v_add_co_ci_u32_e32 v12, vcc_lo, s7, v12, vcc_lo
	s_delay_alu instid0(VALU_DEP_3) | instskip(SKIP_1) | instid1(VALU_DEP_1)
	v_cmp_le_i64_e32 vcc_lo, s[4:5], v[15:16]
	v_add_co_u32 v7, s0, v7, s8
	v_add_co_ci_u32_e64 v8, s0, s9, v8, s0
	s_or_b32 s1, vcc_lo, s1
	s_waitcnt vmcnt(0)
	v_fma_f64 v[13:14], v[18:19], v[20:21], v[13:14]
	s_and_not1_b32 exec_lo, exec_lo, s1
	s_cbranch_execnz .LBB45_29
; %bb.30:
	s_or_b32 exec_lo, exec_lo, s1
.LBB45_31:
	s_delay_alu instid0(SALU_CYCLE_1) | instskip(SKIP_2) | instid1(VALU_DEP_1)
	s_or_b32 exec_lo, exec_lo, s12
	v_lshlrev_b32_e32 v0, 3, v9
	s_mov_b32 s0, exec_lo
	v_lshl_or_b32 v0, v17, 5, v0
	ds_store_b64 v0, v[13:14]
	s_waitcnt lgkmcnt(0)
	s_barrier
	buffer_gl0_inv
	v_cmpx_gt_u32_e32 2, v9
	s_cbranch_execz .LBB45_33
; %bb.32:
	ds_load_2addr_b64 v[10:13], v0 offset1:2
	s_waitcnt lgkmcnt(0)
	v_add_f64 v[7:8], v[12:13], v[10:11]
	ds_store_b64 v0, v[7:8]
.LBB45_33:
	s_or_b32 exec_lo, exec_lo, s0
	v_cmp_eq_u32_e32 vcc_lo, 0, v9
	v_lshlrev_b32_e32 v7, 5, v17
	s_waitcnt lgkmcnt(0)
	s_barrier
	buffer_gl0_inv
	s_and_saveexec_b32 s0, vcc_lo
	s_cbranch_execz .LBB45_35
; %bb.34:
	ds_load_b64 v[8:9], v7 offset:8
	ds_load_b64 v[10:11], v0
	s_waitcnt lgkmcnt(0)
	v_add_f64 v[8:9], v[8:9], v[10:11]
	ds_store_b64 v0, v[8:9]
.LBB45_35:
	s_or_b32 exec_lo, exec_lo, s0
	s_waitcnt lgkmcnt(0)
	s_barrier
	buffer_gl0_inv
	s_and_b32 exec_lo, exec_lo, vcc_lo
	s_cbranch_execz .LBB45_37
; %bb.36:
	v_add_co_u32 v5, vcc_lo, s2, v5
	v_add_co_ci_u32_e32 v6, vcc_lo, s3, v6, vcc_lo
	ds_load_b64 v[10:11], v7
	global_load_b64 v[8:9], v[5:6], off
	s_waitcnt lgkmcnt(0)
	v_mul_f64 v[0:1], v[1:2], v[10:11]
	s_waitcnt vmcnt(0)
	s_delay_alu instid0(VALU_DEP_1)
	v_fma_f64 v[0:1], v[3:4], v[8:9], v[0:1]
	global_store_b64 v[5:6], v[0:1], off
.LBB45_37:
	s_nop 0
	s_sendmsg sendmsg(MSG_DEALLOC_VGPRS)
	s_endpgm
	.section	.rodata,"a",@progbits
	.p2align	6, 0x0
	.amdhsa_kernel _ZN9rocsparseL16sddmm_ell_kernelILi512ELi4EdlldddEEv20rocsparse_operation_S1_16rocsparse_order_S2_T3_S3_S3_T2_NS_24const_host_device_scalarIT1_EEPKT4_lPKT5_lS7_PT6_PKS3_21rocsparse_index_base_b
		.amdhsa_group_segment_fixed_size 4096
		.amdhsa_private_segment_fixed_size 0
		.amdhsa_kernarg_size 120
		.amdhsa_user_sgpr_count 15
		.amdhsa_user_sgpr_dispatch_ptr 0
		.amdhsa_user_sgpr_queue_ptr 0
		.amdhsa_user_sgpr_kernarg_segment_ptr 1
		.amdhsa_user_sgpr_dispatch_id 0
		.amdhsa_user_sgpr_private_segment_size 0
		.amdhsa_wavefront_size32 1
		.amdhsa_uses_dynamic_stack 0
		.amdhsa_enable_private_segment 0
		.amdhsa_system_sgpr_workgroup_id_x 1
		.amdhsa_system_sgpr_workgroup_id_y 0
		.amdhsa_system_sgpr_workgroup_id_z 0
		.amdhsa_system_sgpr_workgroup_info 0
		.amdhsa_system_vgpr_workitem_id 0
		.amdhsa_next_free_vgpr 22
		.amdhsa_next_free_sgpr 18
		.amdhsa_reserve_vcc 1
		.amdhsa_float_round_mode_32 0
		.amdhsa_float_round_mode_16_64 0
		.amdhsa_float_denorm_mode_32 3
		.amdhsa_float_denorm_mode_16_64 3
		.amdhsa_dx10_clamp 1
		.amdhsa_ieee_mode 1
		.amdhsa_fp16_overflow 0
		.amdhsa_workgroup_processor_mode 1
		.amdhsa_memory_ordered 1
		.amdhsa_forward_progress 0
		.amdhsa_shared_vgpr_count 0
		.amdhsa_exception_fp_ieee_invalid_op 0
		.amdhsa_exception_fp_denorm_src 0
		.amdhsa_exception_fp_ieee_div_zero 0
		.amdhsa_exception_fp_ieee_overflow 0
		.amdhsa_exception_fp_ieee_underflow 0
		.amdhsa_exception_fp_ieee_inexact 0
		.amdhsa_exception_int_div_zero 0
	.end_amdhsa_kernel
	.section	.text._ZN9rocsparseL16sddmm_ell_kernelILi512ELi4EdlldddEEv20rocsparse_operation_S1_16rocsparse_order_S2_T3_S3_S3_T2_NS_24const_host_device_scalarIT1_EEPKT4_lPKT5_lS7_PT6_PKS3_21rocsparse_index_base_b,"axG",@progbits,_ZN9rocsparseL16sddmm_ell_kernelILi512ELi4EdlldddEEv20rocsparse_operation_S1_16rocsparse_order_S2_T3_S3_S3_T2_NS_24const_host_device_scalarIT1_EEPKT4_lPKT5_lS7_PT6_PKS3_21rocsparse_index_base_b,comdat
.Lfunc_end45:
	.size	_ZN9rocsparseL16sddmm_ell_kernelILi512ELi4EdlldddEEv20rocsparse_operation_S1_16rocsparse_order_S2_T3_S3_S3_T2_NS_24const_host_device_scalarIT1_EEPKT4_lPKT5_lS7_PT6_PKS3_21rocsparse_index_base_b, .Lfunc_end45-_ZN9rocsparseL16sddmm_ell_kernelILi512ELi4EdlldddEEv20rocsparse_operation_S1_16rocsparse_order_S2_T3_S3_S3_T2_NS_24const_host_device_scalarIT1_EEPKT4_lPKT5_lS7_PT6_PKS3_21rocsparse_index_base_b
                                        ; -- End function
	.section	.AMDGPU.csdata,"",@progbits
; Kernel info:
; codeLenInByte = 2196
; NumSgprs: 20
; NumVgprs: 22
; ScratchSize: 0
; MemoryBound: 0
; FloatMode: 240
; IeeeMode: 1
; LDSByteSize: 4096 bytes/workgroup (compile time only)
; SGPRBlocks: 2
; VGPRBlocks: 2
; NumSGPRsForWavesPerEU: 20
; NumVGPRsForWavesPerEU: 22
; Occupancy: 16
; WaveLimiterHint : 0
; COMPUTE_PGM_RSRC2:SCRATCH_EN: 0
; COMPUTE_PGM_RSRC2:USER_SGPR: 15
; COMPUTE_PGM_RSRC2:TRAP_HANDLER: 0
; COMPUTE_PGM_RSRC2:TGID_X_EN: 1
; COMPUTE_PGM_RSRC2:TGID_Y_EN: 0
; COMPUTE_PGM_RSRC2:TGID_Z_EN: 0
; COMPUTE_PGM_RSRC2:TIDIG_COMP_CNT: 0
	.section	.text._ZN9rocsparseL16sddmm_ell_kernelILi512ELi2EdlldddEEv20rocsparse_operation_S1_16rocsparse_order_S2_T3_S3_S3_T2_NS_24const_host_device_scalarIT1_EEPKT4_lPKT5_lS7_PT6_PKS3_21rocsparse_index_base_b,"axG",@progbits,_ZN9rocsparseL16sddmm_ell_kernelILi512ELi2EdlldddEEv20rocsparse_operation_S1_16rocsparse_order_S2_T3_S3_S3_T2_NS_24const_host_device_scalarIT1_EEPKT4_lPKT5_lS7_PT6_PKS3_21rocsparse_index_base_b,comdat
	.globl	_ZN9rocsparseL16sddmm_ell_kernelILi512ELi2EdlldddEEv20rocsparse_operation_S1_16rocsparse_order_S2_T3_S3_S3_T2_NS_24const_host_device_scalarIT1_EEPKT4_lPKT5_lS7_PT6_PKS3_21rocsparse_index_base_b ; -- Begin function _ZN9rocsparseL16sddmm_ell_kernelILi512ELi2EdlldddEEv20rocsparse_operation_S1_16rocsparse_order_S2_T3_S3_S3_T2_NS_24const_host_device_scalarIT1_EEPKT4_lPKT5_lS7_PT6_PKS3_21rocsparse_index_base_b
	.p2align	8
	.type	_ZN9rocsparseL16sddmm_ell_kernelILi512ELi2EdlldddEEv20rocsparse_operation_S1_16rocsparse_order_S2_T3_S3_S3_T2_NS_24const_host_device_scalarIT1_EEPKT4_lPKT5_lS7_PT6_PKS3_21rocsparse_index_base_b,@function
_ZN9rocsparseL16sddmm_ell_kernelILi512ELi2EdlldddEEv20rocsparse_operation_S1_16rocsparse_order_S2_T3_S3_S3_T2_NS_24const_host_device_scalarIT1_EEPKT4_lPKT5_lS7_PT6_PKS3_21rocsparse_index_base_b: ; @_ZN9rocsparseL16sddmm_ell_kernelILi512ELi2EdlldddEEv20rocsparse_operation_S1_16rocsparse_order_S2_T3_S3_S3_T2_NS_24const_host_device_scalarIT1_EEPKT4_lPKT5_lS7_PT6_PKS3_21rocsparse_index_base_b
; %bb.0:
	s_clause 0x2
	s_load_b64 s[12:13], s[0:1], 0x70
	s_load_b64 s[2:3], s[0:1], 0x30
	s_load_b128 s[8:11], s[0:1], 0x50
	s_waitcnt lgkmcnt(0)
	s_bitcmp1_b32 s13, 0
	v_dual_mov_b32 v1, s2 :: v_dual_mov_b32 v2, s3
	s_cselect_b32 s4, -1, 0
	s_delay_alu instid0(SALU_CYCLE_1)
	s_and_b32 vcc_lo, exec_lo, s4
	s_xor_b32 s4, s4, -1
	s_cbranch_vccnz .LBB46_2
; %bb.1:
	v_dual_mov_b32 v1, s2 :: v_dual_mov_b32 v2, s3
	flat_load_b64 v[1:2], v[1:2]
.LBB46_2:
	v_dual_mov_b32 v3, s10 :: v_dual_mov_b32 v4, s11
	s_and_not1_b32 vcc_lo, exec_lo, s4
	s_cbranch_vccnz .LBB46_4
; %bb.3:
	v_dual_mov_b32 v3, s10 :: v_dual_mov_b32 v4, s11
	flat_load_b64 v[3:4], v[3:4]
.LBB46_4:
	s_waitcnt vmcnt(0) lgkmcnt(0)
	v_cmp_neq_f64_e32 vcc_lo, 0, v[1:2]
	v_cmp_neq_f64_e64 s2, 1.0, v[3:4]
	s_delay_alu instid0(VALU_DEP_1) | instskip(NEXT) | instid1(SALU_CYCLE_1)
	s_or_b32 s2, vcc_lo, s2
	s_and_saveexec_b32 s3, s2
	s_cbranch_execz .LBB46_35
; %bb.5:
	s_load_b128 s[4:7], s[0:1], 0x20
	v_lshrrev_b32_e32 v17, 1, v0
	v_mov_b32_e32 v6, 0
	s_delay_alu instid0(VALU_DEP_2) | instskip(SKIP_1) | instid1(VALU_DEP_1)
	v_lshl_or_b32 v5, s15, 8, v17
	s_waitcnt lgkmcnt(0)
	v_cmp_gt_i64_e32 vcc_lo, s[6:7], v[5:6]
	s_and_b32 exec_lo, exec_lo, vcc_lo
	s_cbranch_execz .LBB46_35
; %bb.6:
	s_clause 0x1
	s_load_b64 s[10:11], s[0:1], 0x10
	s_load_b64 s[6:7], s[0:1], 0x68
	s_mov_b32 s2, 0
                                        ; implicit-def: $vgpr11_vgpr12
	s_waitcnt lgkmcnt(0)
	s_mov_b32 s3, s11
	s_delay_alu instid0(SALU_CYCLE_1) | instskip(SKIP_1) | instid1(SALU_CYCLE_1)
	s_cmp_lg_u64 s[2:3], 0
	s_cselect_b32 s2, -1, 0
	s_and_saveexec_b32 s3, s2
	s_delay_alu instid0(SALU_CYCLE_1)
	s_xor_b32 s3, exec_lo, s3
	s_cbranch_execz .LBB46_8
; %bb.7:
	s_ashr_i32 s14, s11, 31
	s_delay_alu instid0(SALU_CYCLE_1) | instskip(SKIP_2) | instid1(SALU_CYCLE_1)
	s_add_u32 s16, s10, s14
	s_mov_b32 s15, s14
	s_addc_u32 s17, s11, s14
	s_xor_b64 s[14:15], s[16:17], s[14:15]
	s_delay_alu instid0(SALU_CYCLE_1) | instskip(SKIP_3) | instid1(VALU_DEP_1)
	v_cvt_f32_u32_e32 v7, s14
	v_cvt_f32_u32_e32 v8, s15
	s_sub_u32 s2, 0, s14
	s_subb_u32 s11, 0, s15
	v_fmamk_f32 v7, v8, 0x4f800000, v7
	s_delay_alu instid0(VALU_DEP_1) | instskip(SKIP_2) | instid1(VALU_DEP_1)
	v_rcp_f32_e32 v7, v7
	s_waitcnt_depctr 0xfff
	v_mul_f32_e32 v7, 0x5f7ffffc, v7
	v_mul_f32_e32 v8, 0x2f800000, v7
	s_delay_alu instid0(VALU_DEP_1) | instskip(NEXT) | instid1(VALU_DEP_1)
	v_trunc_f32_e32 v8, v8
	v_fmamk_f32 v7, v8, 0xcf800000, v7
	v_cvt_u32_f32_e32 v8, v8
	s_delay_alu instid0(VALU_DEP_2) | instskip(NEXT) | instid1(VALU_DEP_2)
	v_cvt_u32_f32_e32 v7, v7
	v_mul_lo_u32 v9, s2, v8
	s_delay_alu instid0(VALU_DEP_2) | instskip(SKIP_1) | instid1(VALU_DEP_2)
	v_mul_hi_u32 v10, s2, v7
	v_mul_lo_u32 v11, s11, v7
	v_add_nc_u32_e32 v9, v10, v9
	v_mul_lo_u32 v10, s2, v7
	s_delay_alu instid0(VALU_DEP_2) | instskip(NEXT) | instid1(VALU_DEP_2)
	v_add_nc_u32_e32 v9, v9, v11
	v_mul_hi_u32 v11, v7, v10
	s_delay_alu instid0(VALU_DEP_2)
	v_mul_lo_u32 v12, v7, v9
	v_mul_hi_u32 v13, v7, v9
	v_mul_hi_u32 v14, v8, v10
	v_mul_lo_u32 v10, v8, v10
	v_mul_hi_u32 v15, v8, v9
	v_mul_lo_u32 v9, v8, v9
	v_add_co_u32 v11, vcc_lo, v11, v12
	v_add_co_ci_u32_e32 v12, vcc_lo, 0, v13, vcc_lo
	s_delay_alu instid0(VALU_DEP_2) | instskip(NEXT) | instid1(VALU_DEP_2)
	v_add_co_u32 v10, vcc_lo, v11, v10
	v_add_co_ci_u32_e32 v10, vcc_lo, v12, v14, vcc_lo
	v_add_co_ci_u32_e32 v11, vcc_lo, 0, v15, vcc_lo
	s_delay_alu instid0(VALU_DEP_2) | instskip(NEXT) | instid1(VALU_DEP_2)
	v_add_co_u32 v9, vcc_lo, v10, v9
	v_add_co_ci_u32_e32 v10, vcc_lo, 0, v11, vcc_lo
	s_delay_alu instid0(VALU_DEP_2) | instskip(NEXT) | instid1(VALU_DEP_2)
	v_add_co_u32 v7, vcc_lo, v7, v9
	v_add_co_ci_u32_e32 v8, vcc_lo, v8, v10, vcc_lo
	s_delay_alu instid0(VALU_DEP_2) | instskip(SKIP_1) | instid1(VALU_DEP_3)
	v_mul_hi_u32 v9, s2, v7
	v_mul_lo_u32 v11, s11, v7
	v_mul_lo_u32 v10, s2, v8
	s_delay_alu instid0(VALU_DEP_1) | instskip(SKIP_1) | instid1(VALU_DEP_2)
	v_add_nc_u32_e32 v9, v9, v10
	v_mul_lo_u32 v10, s2, v7
	v_add_nc_u32_e32 v9, v9, v11
	s_delay_alu instid0(VALU_DEP_2) | instskip(NEXT) | instid1(VALU_DEP_2)
	v_mul_hi_u32 v11, v7, v10
	v_mul_lo_u32 v12, v7, v9
	v_mul_hi_u32 v13, v7, v9
	v_mul_hi_u32 v14, v8, v10
	v_mul_lo_u32 v10, v8, v10
	v_mul_hi_u32 v15, v8, v9
	v_mul_lo_u32 v9, v8, v9
	v_add_co_u32 v11, vcc_lo, v11, v12
	v_add_co_ci_u32_e32 v12, vcc_lo, 0, v13, vcc_lo
	s_delay_alu instid0(VALU_DEP_2) | instskip(NEXT) | instid1(VALU_DEP_2)
	v_add_co_u32 v10, vcc_lo, v11, v10
	v_add_co_ci_u32_e32 v10, vcc_lo, v12, v14, vcc_lo
	v_add_co_ci_u32_e32 v11, vcc_lo, 0, v15, vcc_lo
	s_delay_alu instid0(VALU_DEP_2) | instskip(NEXT) | instid1(VALU_DEP_2)
	v_add_co_u32 v9, vcc_lo, v10, v9
	v_add_co_ci_u32_e32 v10, vcc_lo, 0, v11, vcc_lo
	s_delay_alu instid0(VALU_DEP_2) | instskip(NEXT) | instid1(VALU_DEP_2)
	v_add_co_u32 v11, vcc_lo, v7, v9
	v_add_co_ci_u32_e32 v13, vcc_lo, v8, v10, vcc_lo
	s_delay_alu instid0(VALU_DEP_2) | instskip(SKIP_1) | instid1(VALU_DEP_3)
	v_mul_hi_u32 v14, v5, v11
	v_mad_u64_u32 v[9:10], null, 0, v11, 0
	v_mad_u64_u32 v[7:8], null, v5, v13, 0
	v_mad_u64_u32 v[11:12], null, 0, v13, 0
	s_delay_alu instid0(VALU_DEP_2) | instskip(NEXT) | instid1(VALU_DEP_3)
	v_add_co_u32 v7, vcc_lo, v14, v7
	v_add_co_ci_u32_e32 v8, vcc_lo, 0, v8, vcc_lo
	s_delay_alu instid0(VALU_DEP_2) | instskip(NEXT) | instid1(VALU_DEP_2)
	v_add_co_u32 v7, vcc_lo, v7, v9
	v_add_co_ci_u32_e32 v7, vcc_lo, v8, v10, vcc_lo
	v_add_co_ci_u32_e32 v8, vcc_lo, 0, v12, vcc_lo
	s_delay_alu instid0(VALU_DEP_2) | instskip(NEXT) | instid1(VALU_DEP_2)
	v_add_co_u32 v9, vcc_lo, v7, v11
	v_add_co_ci_u32_e32 v10, vcc_lo, 0, v8, vcc_lo
	s_delay_alu instid0(VALU_DEP_2) | instskip(SKIP_1) | instid1(VALU_DEP_3)
	v_mul_lo_u32 v11, s15, v9
	v_mad_u64_u32 v[7:8], null, s14, v9, 0
	v_mul_lo_u32 v9, s14, v10
	s_delay_alu instid0(VALU_DEP_2) | instskip(NEXT) | instid1(VALU_DEP_2)
	v_sub_co_u32 v7, vcc_lo, v5, v7
	v_add3_u32 v8, v8, v9, v11
	s_delay_alu instid0(VALU_DEP_1) | instskip(NEXT) | instid1(VALU_DEP_1)
	v_sub_nc_u32_e32 v9, 0, v8
	v_subrev_co_ci_u32_e64 v9, s2, s15, v9, vcc_lo
	v_sub_co_ci_u32_e32 v8, vcc_lo, 0, v8, vcc_lo
	v_sub_co_u32 v10, vcc_lo, v7, s14
	s_delay_alu instid0(VALU_DEP_1) | instskip(SKIP_3) | instid1(VALU_DEP_3)
	v_subrev_co_ci_u32_e64 v11, s2, 0, v9, vcc_lo
	v_cmp_le_u32_e64 s2, s14, v7
	v_subrev_co_ci_u32_e32 v9, vcc_lo, s15, v9, vcc_lo
	v_cmp_le_u32_e32 vcc_lo, s15, v8
	v_cndmask_b32_e64 v12, 0, -1, s2
	v_cmp_le_u32_e64 s2, s14, v10
	v_cndmask_b32_e64 v15, 0, -1, vcc_lo
	v_cmp_eq_u32_e32 vcc_lo, s15, v11
	s_delay_alu instid0(VALU_DEP_3) | instskip(SKIP_1) | instid1(VALU_DEP_1)
	v_cndmask_b32_e64 v13, 0, -1, s2
	v_cmp_le_u32_e64 s2, s15, v11
	v_cndmask_b32_e64 v14, 0, -1, s2
	v_cmp_eq_u32_e64 s2, s15, v8
	s_delay_alu instid0(VALU_DEP_2) | instskip(SKIP_2) | instid1(VALU_DEP_3)
	v_cndmask_b32_e32 v13, v14, v13, vcc_lo
	v_sub_co_u32 v14, vcc_lo, v10, s14
	v_subrev_co_ci_u32_e32 v9, vcc_lo, 0, v9, vcc_lo
	v_cmp_ne_u32_e32 vcc_lo, 0, v13
	v_cndmask_b32_e64 v12, v15, v12, s2
	s_delay_alu instid0(VALU_DEP_3) | instskip(NEXT) | instid1(VALU_DEP_2)
	v_dual_cndmask_b32 v9, v11, v9 :: v_dual_cndmask_b32 v10, v10, v14
	v_cmp_ne_u32_e32 vcc_lo, 0, v12
	s_delay_alu instid0(VALU_DEP_2) | instskip(NEXT) | instid1(VALU_DEP_1)
	v_dual_cndmask_b32 v7, v7, v10 :: v_dual_cndmask_b32 v8, v8, v9
	v_sub_co_u32 v11, vcc_lo, v7, 0
	s_delay_alu instid0(VALU_DEP_2)
	v_subrev_co_ci_u32_e32 v12, vcc_lo, 0, v8, vcc_lo
.LBB46_8:
	s_and_not1_saveexec_b32 s2, s3
	s_cbranch_execz .LBB46_10
; %bb.9:
	v_cvt_f32_u32_e32 v7, s10
	s_sub_i32 s3, 0, s10
	v_mov_b32_e32 v12, 0
	s_delay_alu instid0(VALU_DEP_2) | instskip(SKIP_2) | instid1(VALU_DEP_1)
	v_rcp_iflag_f32_e32 v7, v7
	s_waitcnt_depctr 0xfff
	v_mul_f32_e32 v7, 0x4f7ffffe, v7
	v_cvt_u32_f32_e32 v7, v7
	s_delay_alu instid0(VALU_DEP_1) | instskip(NEXT) | instid1(VALU_DEP_1)
	v_mul_lo_u32 v8, s3, v7
	v_mul_hi_u32 v8, v7, v8
	s_delay_alu instid0(VALU_DEP_1) | instskip(NEXT) | instid1(VALU_DEP_1)
	v_add_nc_u32_e32 v7, v7, v8
	v_mul_hi_u32 v7, v5, v7
	s_delay_alu instid0(VALU_DEP_1) | instskip(NEXT) | instid1(VALU_DEP_1)
	v_mul_lo_u32 v7, v7, s10
	v_sub_nc_u32_e32 v7, v5, v7
	s_delay_alu instid0(VALU_DEP_1) | instskip(SKIP_1) | instid1(VALU_DEP_2)
	v_subrev_nc_u32_e32 v8, s10, v7
	v_cmp_le_u32_e32 vcc_lo, s10, v7
	v_cndmask_b32_e32 v7, v7, v8, vcc_lo
	s_delay_alu instid0(VALU_DEP_1) | instskip(SKIP_1) | instid1(VALU_DEP_2)
	v_subrev_nc_u32_e32 v8, s10, v7
	v_cmp_le_u32_e32 vcc_lo, s10, v7
	v_cndmask_b32_e32 v11, v7, v8, vcc_lo
.LBB46_10:
	s_or_b32 exec_lo, exec_lo, s2
	v_lshlrev_b64 v[5:6], 3, v[5:6]
	s_delay_alu instid0(VALU_DEP_1) | instskip(NEXT) | instid1(VALU_DEP_2)
	v_add_co_u32 v7, vcc_lo, s6, v5
	v_add_co_ci_u32_e32 v8, vcc_lo, s7, v6, vcc_lo
	global_load_b64 v[7:8], v[7:8], off
	s_waitcnt vmcnt(0)
	v_sub_co_u32 v9, vcc_lo, v7, s12
	v_subrev_co_ci_u32_e32 v10, vcc_lo, 0, v8, vcc_lo
	s_delay_alu instid0(VALU_DEP_1)
	v_cmp_lt_i64_e32 vcc_lo, -1, v[9:10]
	s_and_b32 exec_lo, exec_lo, vcc_lo
	s_cbranch_execz .LBB46_35
; %bb.11:
	s_clause 0x1
	s_load_b128 s[12:15], s[0:1], 0x0
	s_load_b64 s[2:3], s[0:1], 0x40
	s_waitcnt lgkmcnt(0)
	s_cmp_eq_u32 s14, 1
	s_cselect_b32 s10, -1, 0
	s_cmpk_eq_i32 s12, 0x6f
	s_cselect_b32 s11, -1, 0
	s_cmpk_lg_i32 s12, 0x6f
	s_cselect_b32 s6, -1, 0
	s_cmp_lg_u32 s14, 1
	s_cbranch_scc0 .LBB46_15
; %bb.12:
	v_dual_mov_b32 v7, v11 :: v_dual_mov_b32 v8, v12
	s_and_not1_b32 vcc_lo, exec_lo, s11
	s_cbranch_vccnz .LBB46_14
; %bb.13:
	v_mul_lo_u32 v13, v12, s2
	v_mul_lo_u32 v14, v11, s3
	v_mad_u64_u32 v[7:8], null, v11, s2, 0
	s_delay_alu instid0(VALU_DEP_1)
	v_add3_u32 v8, v8, v14, v13
.LBB46_14:
	s_cbranch_execz .LBB46_16
	s_branch .LBB46_19
.LBB46_15:
                                        ; implicit-def: $vgpr7_vgpr8
.LBB46_16:
	s_and_not1_b32 vcc_lo, exec_lo, s6
	s_cbranch_vccnz .LBB46_18
; %bb.17:
	v_mul_lo_u32 v12, v12, s2
	v_mul_lo_u32 v13, v11, s3
	v_mad_u64_u32 v[7:8], null, v11, s2, 0
	s_delay_alu instid0(VALU_DEP_1) | instskip(NEXT) | instid1(VALU_DEP_1)
	v_add3_u32 v8, v8, v13, v12
	v_dual_mov_b32 v12, v8 :: v_dual_mov_b32 v11, v7
.LBB46_18:
	s_delay_alu instid0(VALU_DEP_1)
	v_dual_mov_b32 v7, v11 :: v_dual_mov_b32 v8, v12
.LBB46_19:
	s_cmp_eq_u32 s15, 1
	s_cselect_b32 s14, -1, 0
	s_cmpk_eq_i32 s13, 0x6f
	s_cselect_b32 s16, -1, 0
	s_cmpk_lg_i32 s13, 0x6f
	s_cselect_b32 s6, -1, 0
	s_cmp_lg_u32 s15, 1
	s_cbranch_scc0 .LBB46_23
; %bb.20:
	v_dual_mov_b32 v12, v10 :: v_dual_mov_b32 v11, v9
	s_and_not1_b32 vcc_lo, exec_lo, s6
	s_cbranch_vccnz .LBB46_22
; %bb.21:
	v_mul_lo_u32 v13, v10, s8
	v_mul_lo_u32 v14, v9, s9
	v_mad_u64_u32 v[11:12], null, v9, s8, 0
	s_delay_alu instid0(VALU_DEP_1)
	v_add3_u32 v12, v12, v14, v13
.LBB46_22:
	s_cbranch_execz .LBB46_24
	s_branch .LBB46_27
.LBB46_23:
                                        ; implicit-def: $vgpr11_vgpr12
.LBB46_24:
	s_and_not1_b32 vcc_lo, exec_lo, s16
	s_cbranch_vccnz .LBB46_26
; %bb.25:
	v_mul_lo_u32 v12, v10, s8
	v_mul_lo_u32 v13, v9, s9
	v_mad_u64_u32 v[10:11], null, v9, s8, 0
	s_delay_alu instid0(VALU_DEP_1) | instskip(NEXT) | instid1(VALU_DEP_2)
	v_add3_u32 v11, v11, v13, v12
	v_mov_b32_e32 v9, v10
	s_delay_alu instid0(VALU_DEP_2)
	v_mov_b32_e32 v10, v11
.LBB46_26:
	s_delay_alu instid0(VALU_DEP_1)
	v_dual_mov_b32 v12, v10 :: v_dual_mov_b32 v11, v9
.LBB46_27:
	s_load_b64 s[6:7], s[0:1], 0x60
	v_mov_b32_e32 v13, 0
	v_dual_mov_b32 v10, 0 :: v_dual_and_b32 v9, 1, v0
	v_mov_b32_e32 v14, 0
	s_mov_b32 s12, exec_lo
	s_delay_alu instid0(VALU_DEP_2)
	v_cmpx_gt_i64_e64 s[4:5], v[9:10]
	s_cbranch_execz .LBB46_31
; %bb.28:
	s_xor_b32 s10, s11, s10
	v_lshlrev_b64 v[11:12], 3, v[11:12]
	s_and_b32 s10, s10, exec_lo
	s_cselect_b32 s11, 0, s3
	s_cselect_b32 s10, 1, s2
	s_xor_b32 s2, s16, s14
	v_mul_lo_u32 v16, s11, v9
	s_and_b32 s2, s2, exec_lo
	s_cselect_b32 s3, s9, 0
	s_cselect_b32 s2, s8, 1
	v_mul_lo_u32 v14, s3, v9
	v_mul_lo_u32 v13, s2, v9
	s_load_b64 s[8:9], s[0:1], 0x48
	v_mul_lo_u32 v15, s10, v9
	s_load_b64 s[0:1], s[0:1], 0x38
	v_lshlrev_b64 v[7:8], 3, v[7:8]
	s_lshl_b64 s[2:3], s[2:3], 4
	s_delay_alu instid0(VALU_DEP_3) | instskip(NEXT) | instid1(VALU_DEP_3)
	v_lshlrev_b64 v[13:14], 3, v[13:14]
	v_lshlrev_b64 v[15:16], 3, v[15:16]
	s_delay_alu instid0(VALU_DEP_2) | instskip(NEXT) | instid1(VALU_DEP_3)
	v_add_co_u32 v0, vcc_lo, v13, v11
	v_add_co_ci_u32_e32 v11, vcc_lo, v14, v12, vcc_lo
	s_delay_alu instid0(VALU_DEP_3) | instskip(NEXT) | instid1(VALU_DEP_4)
	v_add_co_u32 v12, vcc_lo, v15, v7
	v_add_co_ci_u32_e32 v13, vcc_lo, v16, v8, vcc_lo
	s_waitcnt lgkmcnt(0)
	v_add_co_u32 v7, vcc_lo, s8, v0
	v_add_co_ci_u32_e32 v8, vcc_lo, s9, v11, vcc_lo
	v_add_co_u32 v11, vcc_lo, s0, v12
	v_add_co_ci_u32_e32 v12, vcc_lo, s1, v13, vcc_lo
	v_dual_mov_b32 v13, 0 :: v_dual_mov_b32 v16, v10
	v_dual_mov_b32 v14, 0 :: v_dual_mov_b32 v15, v9
	s_mov_b32 s1, 0
	s_lshl_b64 s[8:9], s[10:11], 4
	.p2align	6
.LBB46_29:                              ; =>This Inner Loop Header: Depth=1
	global_load_b64 v[18:19], v[11:12], off
	global_load_b64 v[20:21], v[7:8], off
	v_add_co_u32 v15, vcc_lo, v15, 2
	v_add_co_ci_u32_e32 v16, vcc_lo, 0, v16, vcc_lo
	v_add_co_u32 v7, vcc_lo, v7, s2
	v_add_co_ci_u32_e32 v8, vcc_lo, s3, v8, vcc_lo
	s_delay_alu instid0(VALU_DEP_3) | instskip(SKIP_1) | instid1(VALU_DEP_1)
	v_cmp_le_i64_e32 vcc_lo, s[4:5], v[15:16]
	v_add_co_u32 v11, s0, v11, s8
	v_add_co_ci_u32_e64 v12, s0, s9, v12, s0
	s_or_b32 s1, vcc_lo, s1
	s_waitcnt vmcnt(0)
	v_fma_f64 v[13:14], v[18:19], v[20:21], v[13:14]
	s_and_not1_b32 exec_lo, exec_lo, s1
	s_cbranch_execnz .LBB46_29
; %bb.30:
	s_or_b32 exec_lo, exec_lo, s1
.LBB46_31:
	s_delay_alu instid0(SALU_CYCLE_1) | instskip(SKIP_2) | instid1(VALU_DEP_2)
	s_or_b32 exec_lo, exec_lo, s12
	v_lshlrev_b32_e32 v0, 4, v17
	v_cmp_eq_u32_e32 vcc_lo, 0, v9
	v_lshl_or_b32 v7, v9, 3, v0
	ds_store_b64 v7, v[13:14]
	s_waitcnt lgkmcnt(0)
	s_barrier
	buffer_gl0_inv
	s_and_saveexec_b32 s0, vcc_lo
	s_cbranch_execz .LBB46_33
; %bb.32:
	ds_load_b64 v[8:9], v0 offset:8
	ds_load_b64 v[10:11], v7
	s_waitcnt lgkmcnt(0)
	v_add_f64 v[8:9], v[8:9], v[10:11]
	ds_store_b64 v7, v[8:9]
.LBB46_33:
	s_or_b32 exec_lo, exec_lo, s0
	s_waitcnt lgkmcnt(0)
	s_barrier
	buffer_gl0_inv
	s_and_b32 exec_lo, exec_lo, vcc_lo
	s_cbranch_execz .LBB46_35
; %bb.34:
	v_add_co_u32 v5, vcc_lo, s6, v5
	v_add_co_ci_u32_e32 v6, vcc_lo, s7, v6, vcc_lo
	ds_load_b64 v[9:10], v0
	global_load_b64 v[7:8], v[5:6], off
	s_waitcnt lgkmcnt(0)
	v_mul_f64 v[0:1], v[1:2], v[9:10]
	s_waitcnt vmcnt(0)
	s_delay_alu instid0(VALU_DEP_1)
	v_fma_f64 v[0:1], v[3:4], v[7:8], v[0:1]
	global_store_b64 v[5:6], v[0:1], off
.LBB46_35:
	s_nop 0
	s_sendmsg sendmsg(MSG_DEALLOC_VGPRS)
	s_endpgm
	.section	.rodata,"a",@progbits
	.p2align	6, 0x0
	.amdhsa_kernel _ZN9rocsparseL16sddmm_ell_kernelILi512ELi2EdlldddEEv20rocsparse_operation_S1_16rocsparse_order_S2_T3_S3_S3_T2_NS_24const_host_device_scalarIT1_EEPKT4_lPKT5_lS7_PT6_PKS3_21rocsparse_index_base_b
		.amdhsa_group_segment_fixed_size 4096
		.amdhsa_private_segment_fixed_size 0
		.amdhsa_kernarg_size 120
		.amdhsa_user_sgpr_count 15
		.amdhsa_user_sgpr_dispatch_ptr 0
		.amdhsa_user_sgpr_queue_ptr 0
		.amdhsa_user_sgpr_kernarg_segment_ptr 1
		.amdhsa_user_sgpr_dispatch_id 0
		.amdhsa_user_sgpr_private_segment_size 0
		.amdhsa_wavefront_size32 1
		.amdhsa_uses_dynamic_stack 0
		.amdhsa_enable_private_segment 0
		.amdhsa_system_sgpr_workgroup_id_x 1
		.amdhsa_system_sgpr_workgroup_id_y 0
		.amdhsa_system_sgpr_workgroup_id_z 0
		.amdhsa_system_sgpr_workgroup_info 0
		.amdhsa_system_vgpr_workitem_id 0
		.amdhsa_next_free_vgpr 22
		.amdhsa_next_free_sgpr 18
		.amdhsa_reserve_vcc 1
		.amdhsa_float_round_mode_32 0
		.amdhsa_float_round_mode_16_64 0
		.amdhsa_float_denorm_mode_32 3
		.amdhsa_float_denorm_mode_16_64 3
		.amdhsa_dx10_clamp 1
		.amdhsa_ieee_mode 1
		.amdhsa_fp16_overflow 0
		.amdhsa_workgroup_processor_mode 1
		.amdhsa_memory_ordered 1
		.amdhsa_forward_progress 0
		.amdhsa_shared_vgpr_count 0
		.amdhsa_exception_fp_ieee_invalid_op 0
		.amdhsa_exception_fp_denorm_src 0
		.amdhsa_exception_fp_ieee_div_zero 0
		.amdhsa_exception_fp_ieee_overflow 0
		.amdhsa_exception_fp_ieee_underflow 0
		.amdhsa_exception_fp_ieee_inexact 0
		.amdhsa_exception_int_div_zero 0
	.end_amdhsa_kernel
	.section	.text._ZN9rocsparseL16sddmm_ell_kernelILi512ELi2EdlldddEEv20rocsparse_operation_S1_16rocsparse_order_S2_T3_S3_S3_T2_NS_24const_host_device_scalarIT1_EEPKT4_lPKT5_lS7_PT6_PKS3_21rocsparse_index_base_b,"axG",@progbits,_ZN9rocsparseL16sddmm_ell_kernelILi512ELi2EdlldddEEv20rocsparse_operation_S1_16rocsparse_order_S2_T3_S3_S3_T2_NS_24const_host_device_scalarIT1_EEPKT4_lPKT5_lS7_PT6_PKS3_21rocsparse_index_base_b,comdat
.Lfunc_end46:
	.size	_ZN9rocsparseL16sddmm_ell_kernelILi512ELi2EdlldddEEv20rocsparse_operation_S1_16rocsparse_order_S2_T3_S3_S3_T2_NS_24const_host_device_scalarIT1_EEPKT4_lPKT5_lS7_PT6_PKS3_21rocsparse_index_base_b, .Lfunc_end46-_ZN9rocsparseL16sddmm_ell_kernelILi512ELi2EdlldddEEv20rocsparse_operation_S1_16rocsparse_order_S2_T3_S3_S3_T2_NS_24const_host_device_scalarIT1_EEPKT4_lPKT5_lS7_PT6_PKS3_21rocsparse_index_base_b
                                        ; -- End function
	.section	.AMDGPU.csdata,"",@progbits
; Kernel info:
; codeLenInByte = 2104
; NumSgprs: 20
; NumVgprs: 22
; ScratchSize: 0
; MemoryBound: 0
; FloatMode: 240
; IeeeMode: 1
; LDSByteSize: 4096 bytes/workgroup (compile time only)
; SGPRBlocks: 2
; VGPRBlocks: 2
; NumSGPRsForWavesPerEU: 20
; NumVGPRsForWavesPerEU: 22
; Occupancy: 16
; WaveLimiterHint : 0
; COMPUTE_PGM_RSRC2:SCRATCH_EN: 0
; COMPUTE_PGM_RSRC2:USER_SGPR: 15
; COMPUTE_PGM_RSRC2:TRAP_HANDLER: 0
; COMPUTE_PGM_RSRC2:TGID_X_EN: 1
; COMPUTE_PGM_RSRC2:TGID_Y_EN: 0
; COMPUTE_PGM_RSRC2:TGID_Z_EN: 0
; COMPUTE_PGM_RSRC2:TIDIG_COMP_CNT: 0
	.section	.text._ZN9rocsparseL16sddmm_ell_kernelILi512ELi1EdlldddEEv20rocsparse_operation_S1_16rocsparse_order_S2_T3_S3_S3_T2_NS_24const_host_device_scalarIT1_EEPKT4_lPKT5_lS7_PT6_PKS3_21rocsparse_index_base_b,"axG",@progbits,_ZN9rocsparseL16sddmm_ell_kernelILi512ELi1EdlldddEEv20rocsparse_operation_S1_16rocsparse_order_S2_T3_S3_S3_T2_NS_24const_host_device_scalarIT1_EEPKT4_lPKT5_lS7_PT6_PKS3_21rocsparse_index_base_b,comdat
	.globl	_ZN9rocsparseL16sddmm_ell_kernelILi512ELi1EdlldddEEv20rocsparse_operation_S1_16rocsparse_order_S2_T3_S3_S3_T2_NS_24const_host_device_scalarIT1_EEPKT4_lPKT5_lS7_PT6_PKS3_21rocsparse_index_base_b ; -- Begin function _ZN9rocsparseL16sddmm_ell_kernelILi512ELi1EdlldddEEv20rocsparse_operation_S1_16rocsparse_order_S2_T3_S3_S3_T2_NS_24const_host_device_scalarIT1_EEPKT4_lPKT5_lS7_PT6_PKS3_21rocsparse_index_base_b
	.p2align	8
	.type	_ZN9rocsparseL16sddmm_ell_kernelILi512ELi1EdlldddEEv20rocsparse_operation_S1_16rocsparse_order_S2_T3_S3_S3_T2_NS_24const_host_device_scalarIT1_EEPKT4_lPKT5_lS7_PT6_PKS3_21rocsparse_index_base_b,@function
_ZN9rocsparseL16sddmm_ell_kernelILi512ELi1EdlldddEEv20rocsparse_operation_S1_16rocsparse_order_S2_T3_S3_S3_T2_NS_24const_host_device_scalarIT1_EEPKT4_lPKT5_lS7_PT6_PKS3_21rocsparse_index_base_b: ; @_ZN9rocsparseL16sddmm_ell_kernelILi512ELi1EdlldddEEv20rocsparse_operation_S1_16rocsparse_order_S2_T3_S3_S3_T2_NS_24const_host_device_scalarIT1_EEPKT4_lPKT5_lS7_PT6_PKS3_21rocsparse_index_base_b
; %bb.0:
	s_clause 0x2
	s_load_b64 s[12:13], s[0:1], 0x70
	s_load_b64 s[2:3], s[0:1], 0x30
	s_load_b128 s[4:7], s[0:1], 0x50
	s_waitcnt lgkmcnt(0)
	s_bitcmp1_b32 s13, 0
	v_dual_mov_b32 v1, s2 :: v_dual_mov_b32 v2, s3
	s_cselect_b32 s8, -1, 0
	s_delay_alu instid0(SALU_CYCLE_1)
	s_and_b32 vcc_lo, exec_lo, s8
	s_xor_b32 s8, s8, -1
	s_cbranch_vccnz .LBB47_2
; %bb.1:
	v_dual_mov_b32 v1, s2 :: v_dual_mov_b32 v2, s3
	flat_load_b64 v[1:2], v[1:2]
.LBB47_2:
	v_dual_mov_b32 v3, s6 :: v_dual_mov_b32 v4, s7
	s_and_not1_b32 vcc_lo, exec_lo, s8
	s_cbranch_vccnz .LBB47_4
; %bb.3:
	v_dual_mov_b32 v3, s6 :: v_dual_mov_b32 v4, s7
	flat_load_b64 v[3:4], v[3:4]
.LBB47_4:
	s_waitcnt vmcnt(0) lgkmcnt(0)
	v_cmp_neq_f64_e32 vcc_lo, 0, v[1:2]
	v_cmp_neq_f64_e64 s2, 1.0, v[3:4]
	s_delay_alu instid0(VALU_DEP_1) | instskip(NEXT) | instid1(SALU_CYCLE_1)
	s_or_b32 s2, vcc_lo, s2
	s_and_saveexec_b32 s3, s2
	s_cbranch_execz .LBB47_32
; %bb.5:
	s_load_b128 s[8:11], s[0:1], 0x20
	v_lshl_or_b32 v5, s15, 9, v0
	v_mov_b32_e32 v6, 0
	s_waitcnt lgkmcnt(0)
	s_delay_alu instid0(VALU_DEP_1)
	v_cmp_gt_i64_e32 vcc_lo, s[10:11], v[5:6]
	s_and_b32 exec_lo, exec_lo, vcc_lo
	s_cbranch_execz .LBB47_32
; %bb.6:
	s_clause 0x1
	s_load_b64 s[10:11], s[0:1], 0x10
	s_load_b64 s[6:7], s[0:1], 0x68
	s_mov_b32 s2, 0
                                        ; implicit-def: $vgpr11_vgpr12
	s_waitcnt lgkmcnt(0)
	s_mov_b32 s3, s11
	s_delay_alu instid0(SALU_CYCLE_1) | instskip(SKIP_1) | instid1(SALU_CYCLE_1)
	s_cmp_lg_u64 s[2:3], 0
	s_cselect_b32 s2, -1, 0
	s_and_saveexec_b32 s3, s2
	s_delay_alu instid0(SALU_CYCLE_1)
	s_xor_b32 s3, exec_lo, s3
	s_cbranch_execz .LBB47_8
; %bb.7:
	s_ashr_i32 s14, s11, 31
	s_delay_alu instid0(SALU_CYCLE_1) | instskip(SKIP_2) | instid1(SALU_CYCLE_1)
	s_add_u32 s16, s10, s14
	s_mov_b32 s15, s14
	s_addc_u32 s17, s11, s14
	s_xor_b64 s[14:15], s[16:17], s[14:15]
	s_delay_alu instid0(SALU_CYCLE_1) | instskip(SKIP_3) | instid1(VALU_DEP_1)
	v_cvt_f32_u32_e32 v7, s14
	v_cvt_f32_u32_e32 v8, s15
	s_sub_u32 s2, 0, s14
	s_subb_u32 s11, 0, s15
	v_fmamk_f32 v7, v8, 0x4f800000, v7
	s_delay_alu instid0(VALU_DEP_1) | instskip(SKIP_2) | instid1(VALU_DEP_1)
	v_rcp_f32_e32 v7, v7
	s_waitcnt_depctr 0xfff
	v_mul_f32_e32 v7, 0x5f7ffffc, v7
	v_mul_f32_e32 v8, 0x2f800000, v7
	s_delay_alu instid0(VALU_DEP_1) | instskip(NEXT) | instid1(VALU_DEP_1)
	v_trunc_f32_e32 v8, v8
	v_fmamk_f32 v7, v8, 0xcf800000, v7
	v_cvt_u32_f32_e32 v8, v8
	s_delay_alu instid0(VALU_DEP_2) | instskip(NEXT) | instid1(VALU_DEP_2)
	v_cvt_u32_f32_e32 v7, v7
	v_mul_lo_u32 v9, s2, v8
	s_delay_alu instid0(VALU_DEP_2) | instskip(SKIP_1) | instid1(VALU_DEP_2)
	v_mul_hi_u32 v10, s2, v7
	v_mul_lo_u32 v11, s11, v7
	v_add_nc_u32_e32 v9, v10, v9
	v_mul_lo_u32 v10, s2, v7
	s_delay_alu instid0(VALU_DEP_2) | instskip(NEXT) | instid1(VALU_DEP_2)
	v_add_nc_u32_e32 v9, v9, v11
	v_mul_hi_u32 v11, v7, v10
	s_delay_alu instid0(VALU_DEP_2)
	v_mul_lo_u32 v12, v7, v9
	v_mul_hi_u32 v13, v7, v9
	v_mul_hi_u32 v14, v8, v10
	v_mul_lo_u32 v10, v8, v10
	v_mul_hi_u32 v15, v8, v9
	v_mul_lo_u32 v9, v8, v9
	v_add_co_u32 v11, vcc_lo, v11, v12
	v_add_co_ci_u32_e32 v12, vcc_lo, 0, v13, vcc_lo
	s_delay_alu instid0(VALU_DEP_2) | instskip(NEXT) | instid1(VALU_DEP_2)
	v_add_co_u32 v10, vcc_lo, v11, v10
	v_add_co_ci_u32_e32 v10, vcc_lo, v12, v14, vcc_lo
	v_add_co_ci_u32_e32 v11, vcc_lo, 0, v15, vcc_lo
	s_delay_alu instid0(VALU_DEP_2) | instskip(NEXT) | instid1(VALU_DEP_2)
	v_add_co_u32 v9, vcc_lo, v10, v9
	v_add_co_ci_u32_e32 v10, vcc_lo, 0, v11, vcc_lo
	s_delay_alu instid0(VALU_DEP_2) | instskip(NEXT) | instid1(VALU_DEP_2)
	v_add_co_u32 v7, vcc_lo, v7, v9
	v_add_co_ci_u32_e32 v8, vcc_lo, v8, v10, vcc_lo
	s_delay_alu instid0(VALU_DEP_2) | instskip(SKIP_1) | instid1(VALU_DEP_3)
	v_mul_hi_u32 v9, s2, v7
	v_mul_lo_u32 v11, s11, v7
	v_mul_lo_u32 v10, s2, v8
	s_delay_alu instid0(VALU_DEP_1) | instskip(SKIP_1) | instid1(VALU_DEP_2)
	v_add_nc_u32_e32 v9, v9, v10
	v_mul_lo_u32 v10, s2, v7
	v_add_nc_u32_e32 v9, v9, v11
	s_delay_alu instid0(VALU_DEP_2) | instskip(NEXT) | instid1(VALU_DEP_2)
	v_mul_hi_u32 v11, v7, v10
	v_mul_lo_u32 v12, v7, v9
	v_mul_hi_u32 v13, v7, v9
	v_mul_hi_u32 v14, v8, v10
	v_mul_lo_u32 v10, v8, v10
	v_mul_hi_u32 v15, v8, v9
	v_mul_lo_u32 v9, v8, v9
	v_add_co_u32 v11, vcc_lo, v11, v12
	v_add_co_ci_u32_e32 v12, vcc_lo, 0, v13, vcc_lo
	s_delay_alu instid0(VALU_DEP_2) | instskip(NEXT) | instid1(VALU_DEP_2)
	v_add_co_u32 v10, vcc_lo, v11, v10
	v_add_co_ci_u32_e32 v10, vcc_lo, v12, v14, vcc_lo
	v_add_co_ci_u32_e32 v11, vcc_lo, 0, v15, vcc_lo
	s_delay_alu instid0(VALU_DEP_2) | instskip(NEXT) | instid1(VALU_DEP_2)
	v_add_co_u32 v9, vcc_lo, v10, v9
	v_add_co_ci_u32_e32 v10, vcc_lo, 0, v11, vcc_lo
	s_delay_alu instid0(VALU_DEP_2) | instskip(NEXT) | instid1(VALU_DEP_2)
	v_add_co_u32 v11, vcc_lo, v7, v9
	v_add_co_ci_u32_e32 v13, vcc_lo, v8, v10, vcc_lo
	s_delay_alu instid0(VALU_DEP_2) | instskip(SKIP_1) | instid1(VALU_DEP_3)
	v_mul_hi_u32 v14, v5, v11
	v_mad_u64_u32 v[9:10], null, 0, v11, 0
	v_mad_u64_u32 v[7:8], null, v5, v13, 0
	;; [unrolled: 1-line block ×3, first 2 shown]
	s_delay_alu instid0(VALU_DEP_2) | instskip(NEXT) | instid1(VALU_DEP_3)
	v_add_co_u32 v7, vcc_lo, v14, v7
	v_add_co_ci_u32_e32 v8, vcc_lo, 0, v8, vcc_lo
	s_delay_alu instid0(VALU_DEP_2) | instskip(NEXT) | instid1(VALU_DEP_2)
	v_add_co_u32 v7, vcc_lo, v7, v9
	v_add_co_ci_u32_e32 v7, vcc_lo, v8, v10, vcc_lo
	v_add_co_ci_u32_e32 v8, vcc_lo, 0, v12, vcc_lo
	s_delay_alu instid0(VALU_DEP_2) | instskip(NEXT) | instid1(VALU_DEP_2)
	v_add_co_u32 v9, vcc_lo, v7, v11
	v_add_co_ci_u32_e32 v10, vcc_lo, 0, v8, vcc_lo
	s_delay_alu instid0(VALU_DEP_2) | instskip(SKIP_1) | instid1(VALU_DEP_3)
	v_mul_lo_u32 v11, s15, v9
	v_mad_u64_u32 v[7:8], null, s14, v9, 0
	v_mul_lo_u32 v9, s14, v10
	s_delay_alu instid0(VALU_DEP_2) | instskip(NEXT) | instid1(VALU_DEP_2)
	v_sub_co_u32 v7, vcc_lo, v5, v7
	v_add3_u32 v8, v8, v9, v11
	s_delay_alu instid0(VALU_DEP_1) | instskip(NEXT) | instid1(VALU_DEP_1)
	v_sub_nc_u32_e32 v9, 0, v8
	v_subrev_co_ci_u32_e64 v9, s2, s15, v9, vcc_lo
	v_sub_co_ci_u32_e32 v8, vcc_lo, 0, v8, vcc_lo
	v_sub_co_u32 v10, vcc_lo, v7, s14
	s_delay_alu instid0(VALU_DEP_1) | instskip(SKIP_3) | instid1(VALU_DEP_3)
	v_subrev_co_ci_u32_e64 v11, s2, 0, v9, vcc_lo
	v_cmp_le_u32_e64 s2, s14, v7
	v_subrev_co_ci_u32_e32 v9, vcc_lo, s15, v9, vcc_lo
	v_cmp_le_u32_e32 vcc_lo, s15, v8
	v_cndmask_b32_e64 v12, 0, -1, s2
	v_cmp_le_u32_e64 s2, s14, v10
	v_cndmask_b32_e64 v15, 0, -1, vcc_lo
	v_cmp_eq_u32_e32 vcc_lo, s15, v11
	s_delay_alu instid0(VALU_DEP_3) | instskip(SKIP_1) | instid1(VALU_DEP_1)
	v_cndmask_b32_e64 v13, 0, -1, s2
	v_cmp_le_u32_e64 s2, s15, v11
	v_cndmask_b32_e64 v14, 0, -1, s2
	v_cmp_eq_u32_e64 s2, s15, v8
	s_delay_alu instid0(VALU_DEP_2) | instskip(SKIP_2) | instid1(VALU_DEP_3)
	v_cndmask_b32_e32 v13, v14, v13, vcc_lo
	v_sub_co_u32 v14, vcc_lo, v10, s14
	v_subrev_co_ci_u32_e32 v9, vcc_lo, 0, v9, vcc_lo
	v_cmp_ne_u32_e32 vcc_lo, 0, v13
	v_cndmask_b32_e64 v12, v15, v12, s2
	s_delay_alu instid0(VALU_DEP_3) | instskip(NEXT) | instid1(VALU_DEP_2)
	v_dual_cndmask_b32 v9, v11, v9 :: v_dual_cndmask_b32 v10, v10, v14
	v_cmp_ne_u32_e32 vcc_lo, 0, v12
	s_delay_alu instid0(VALU_DEP_2) | instskip(NEXT) | instid1(VALU_DEP_1)
	v_dual_cndmask_b32 v7, v7, v10 :: v_dual_cndmask_b32 v8, v8, v9
	v_sub_co_u32 v11, vcc_lo, v7, 0
	s_delay_alu instid0(VALU_DEP_2)
	v_subrev_co_ci_u32_e32 v12, vcc_lo, 0, v8, vcc_lo
.LBB47_8:
	s_and_not1_saveexec_b32 s2, s3
	s_cbranch_execz .LBB47_10
; %bb.9:
	v_cvt_f32_u32_e32 v7, s10
	s_sub_i32 s3, 0, s10
	v_mov_b32_e32 v12, 0
	s_delay_alu instid0(VALU_DEP_2) | instskip(SKIP_2) | instid1(VALU_DEP_1)
	v_rcp_iflag_f32_e32 v7, v7
	s_waitcnt_depctr 0xfff
	v_mul_f32_e32 v7, 0x4f7ffffe, v7
	v_cvt_u32_f32_e32 v7, v7
	s_delay_alu instid0(VALU_DEP_1) | instskip(NEXT) | instid1(VALU_DEP_1)
	v_mul_lo_u32 v8, s3, v7
	v_mul_hi_u32 v8, v7, v8
	s_delay_alu instid0(VALU_DEP_1) | instskip(NEXT) | instid1(VALU_DEP_1)
	v_add_nc_u32_e32 v7, v7, v8
	v_mul_hi_u32 v7, v5, v7
	s_delay_alu instid0(VALU_DEP_1) | instskip(NEXT) | instid1(VALU_DEP_1)
	v_mul_lo_u32 v7, v7, s10
	v_sub_nc_u32_e32 v7, v5, v7
	s_delay_alu instid0(VALU_DEP_1) | instskip(SKIP_1) | instid1(VALU_DEP_2)
	v_subrev_nc_u32_e32 v8, s10, v7
	v_cmp_le_u32_e32 vcc_lo, s10, v7
	v_cndmask_b32_e32 v7, v7, v8, vcc_lo
	s_delay_alu instid0(VALU_DEP_1) | instskip(SKIP_1) | instid1(VALU_DEP_2)
	v_subrev_nc_u32_e32 v8, s10, v7
	v_cmp_le_u32_e32 vcc_lo, s10, v7
	v_cndmask_b32_e32 v11, v7, v8, vcc_lo
.LBB47_10:
	s_or_b32 exec_lo, exec_lo, s2
	v_lshlrev_b64 v[5:6], 3, v[5:6]
	s_delay_alu instid0(VALU_DEP_1) | instskip(NEXT) | instid1(VALU_DEP_2)
	v_add_co_u32 v7, vcc_lo, s6, v5
	v_add_co_ci_u32_e32 v8, vcc_lo, s7, v6, vcc_lo
	global_load_b64 v[7:8], v[7:8], off
	s_waitcnt vmcnt(0)
	v_sub_co_u32 v7, vcc_lo, v7, s12
	v_subrev_co_ci_u32_e32 v8, vcc_lo, 0, v8, vcc_lo
	s_delay_alu instid0(VALU_DEP_1)
	v_cmp_lt_i64_e32 vcc_lo, -1, v[7:8]
	s_and_b32 exec_lo, exec_lo, vcc_lo
	s_cbranch_execz .LBB47_32
; %bb.11:
	s_clause 0x1
	s_load_b128 s[12:15], s[0:1], 0x0
	s_load_b64 s[2:3], s[0:1], 0x40
	s_waitcnt lgkmcnt(0)
	s_cmp_eq_u32 s14, 1
	s_cselect_b32 s10, -1, 0
	s_cmpk_eq_i32 s12, 0x6f
	s_cselect_b32 s11, -1, 0
	s_cmpk_lg_i32 s12, 0x6f
	s_cselect_b32 s6, -1, 0
	s_cmp_lg_u32 s14, 1
	s_cbranch_scc0 .LBB47_15
; %bb.12:
	v_dual_mov_b32 v9, v11 :: v_dual_mov_b32 v10, v12
	s_and_not1_b32 vcc_lo, exec_lo, s11
	s_cbranch_vccnz .LBB47_14
; %bb.13:
	v_mul_lo_u32 v13, v12, s2
	v_mul_lo_u32 v14, v11, s3
	v_mad_u64_u32 v[9:10], null, v11, s2, 0
	s_delay_alu instid0(VALU_DEP_1)
	v_add3_u32 v10, v10, v14, v13
.LBB47_14:
	s_cbranch_execz .LBB47_16
	s_branch .LBB47_19
.LBB47_15:
                                        ; implicit-def: $vgpr9_vgpr10
.LBB47_16:
	s_and_not1_b32 vcc_lo, exec_lo, s6
	s_cbranch_vccnz .LBB47_18
; %bb.17:
	v_mul_lo_u32 v12, v12, s2
	v_mul_lo_u32 v13, v11, s3
	v_mad_u64_u32 v[9:10], null, v11, s2, 0
	s_delay_alu instid0(VALU_DEP_1) | instskip(NEXT) | instid1(VALU_DEP_1)
	v_add3_u32 v10, v10, v13, v12
	v_dual_mov_b32 v12, v10 :: v_dual_mov_b32 v11, v9
.LBB47_18:
	s_delay_alu instid0(VALU_DEP_1)
	v_dual_mov_b32 v9, v11 :: v_dual_mov_b32 v10, v12
.LBB47_19:
	s_cmp_eq_u32 s15, 1
	s_cselect_b32 s12, -1, 0
	s_cmpk_eq_i32 s13, 0x6f
	s_cselect_b32 s14, -1, 0
	s_cmpk_lg_i32 s13, 0x6f
	s_cselect_b32 s6, -1, 0
	s_cmp_lg_u32 s15, 1
	s_cbranch_scc0 .LBB47_23
; %bb.20:
	v_dual_mov_b32 v12, v8 :: v_dual_mov_b32 v11, v7
	s_and_not1_b32 vcc_lo, exec_lo, s6
	s_cbranch_vccnz .LBB47_22
; %bb.21:
	v_mul_lo_u32 v13, v8, s4
	v_mul_lo_u32 v14, v7, s5
	v_mad_u64_u32 v[11:12], null, v7, s4, 0
	s_delay_alu instid0(VALU_DEP_1)
	v_add3_u32 v12, v12, v14, v13
.LBB47_22:
	s_cbranch_execz .LBB47_24
	s_branch .LBB47_27
.LBB47_23:
                                        ; implicit-def: $vgpr11_vgpr12
.LBB47_24:
	s_and_not1_b32 vcc_lo, exec_lo, s14
	s_cbranch_vccnz .LBB47_26
; %bb.25:
	v_mul_lo_u32 v8, v8, s4
	v_mul_lo_u32 v13, v7, s5
	v_mad_u64_u32 v[11:12], null, v7, s4, 0
	s_delay_alu instid0(VALU_DEP_1) | instskip(NEXT) | instid1(VALU_DEP_1)
	v_add3_u32 v12, v12, v13, v8
	v_dual_mov_b32 v7, v11 :: v_dual_mov_b32 v8, v12
.LBB47_26:
	s_delay_alu instid0(VALU_DEP_1)
	v_dual_mov_b32 v12, v8 :: v_dual_mov_b32 v11, v7
.LBB47_27:
	s_load_b64 s[6:7], s[0:1], 0x60
	v_cmp_lt_i64_e64 s13, s[8:9], 1
	s_delay_alu instid0(VALU_DEP_1)
	s_and_b32 vcc_lo, exec_lo, s13
	s_cbranch_vccnz .LBB47_30
; %bb.28:
	s_clause 0x1
	s_load_b64 s[16:17], s[0:1], 0x48
	s_load_b64 s[0:1], s[0:1], 0x38
	v_lshlrev_b64 v[11:12], 3, v[11:12]
	v_lshlrev_b64 v[13:14], 3, v[9:10]
	s_xor_b32 s10, s11, s10
	v_mov_b32_e32 v7, 0
	s_and_b32 s10, s10, exec_lo
	s_cselect_b32 s3, 0, s3
	s_cselect_b32 s2, 1, s2
	s_xor_b32 s10, s14, s12
	v_mov_b32_e32 v8, 0
	s_and_b32 s10, s10, exec_lo
	s_cselect_b32 s5, s5, 0
	s_cselect_b32 s4, s4, 1
	s_lshl_b64 s[2:3], s[2:3], 3
	s_waitcnt lgkmcnt(0)
	v_add_co_u32 v9, vcc_lo, s16, v11
	v_add_co_ci_u32_e32 v10, vcc_lo, s17, v12, vcc_lo
	v_add_co_u32 v11, vcc_lo, s0, v13
	v_add_co_ci_u32_e32 v12, vcc_lo, s1, v14, vcc_lo
	s_lshl_b64 s[0:1], s[4:5], 3
	.p2align	6
.LBB47_29:                              ; =>This Inner Loop Header: Depth=1
	global_load_b64 v[13:14], v[11:12], off
	global_load_b64 v[15:16], v[9:10], off
	v_add_co_u32 v9, vcc_lo, v9, s0
	v_add_co_ci_u32_e32 v10, vcc_lo, s1, v10, vcc_lo
	v_add_co_u32 v11, vcc_lo, v11, s2
	s_add_u32 s8, s8, -1
	v_add_co_ci_u32_e32 v12, vcc_lo, s3, v12, vcc_lo
	s_addc_u32 s9, s9, -1
	s_delay_alu instid0(SALU_CYCLE_1)
	s_cmp_eq_u64 s[8:9], 0
	s_waitcnt vmcnt(0)
	v_fma_f64 v[7:8], v[13:14], v[15:16], v[7:8]
	s_cbranch_scc0 .LBB47_29
	s_branch .LBB47_31
.LBB47_30:
	v_mov_b32_e32 v7, 0
	v_mov_b32_e32 v8, 0
.LBB47_31:
	s_waitcnt lgkmcnt(0)
	v_add_co_u32 v5, vcc_lo, s6, v5
	v_lshlrev_b32_e32 v0, 3, v0
	v_add_co_ci_u32_e32 v6, vcc_lo, s7, v6, vcc_lo
	ds_store_b64 v0, v[7:8]
	s_waitcnt lgkmcnt(0)
	s_barrier
	buffer_gl0_inv
	global_load_b64 v[7:8], v[5:6], off
	ds_load_b64 v[9:10], v0
	s_waitcnt lgkmcnt(0)
	v_mul_f64 v[0:1], v[1:2], v[9:10]
	s_waitcnt vmcnt(0)
	s_delay_alu instid0(VALU_DEP_1)
	v_fma_f64 v[0:1], v[3:4], v[7:8], v[0:1]
	global_store_b64 v[5:6], v[0:1], off
.LBB47_32:
	s_nop 0
	s_sendmsg sendmsg(MSG_DEALLOC_VGPRS)
	s_endpgm
	.section	.rodata,"a",@progbits
	.p2align	6, 0x0
	.amdhsa_kernel _ZN9rocsparseL16sddmm_ell_kernelILi512ELi1EdlldddEEv20rocsparse_operation_S1_16rocsparse_order_S2_T3_S3_S3_T2_NS_24const_host_device_scalarIT1_EEPKT4_lPKT5_lS7_PT6_PKS3_21rocsparse_index_base_b
		.amdhsa_group_segment_fixed_size 4096
		.amdhsa_private_segment_fixed_size 0
		.amdhsa_kernarg_size 120
		.amdhsa_user_sgpr_count 15
		.amdhsa_user_sgpr_dispatch_ptr 0
		.amdhsa_user_sgpr_queue_ptr 0
		.amdhsa_user_sgpr_kernarg_segment_ptr 1
		.amdhsa_user_sgpr_dispatch_id 0
		.amdhsa_user_sgpr_private_segment_size 0
		.amdhsa_wavefront_size32 1
		.amdhsa_uses_dynamic_stack 0
		.amdhsa_enable_private_segment 0
		.amdhsa_system_sgpr_workgroup_id_x 1
		.amdhsa_system_sgpr_workgroup_id_y 0
		.amdhsa_system_sgpr_workgroup_id_z 0
		.amdhsa_system_sgpr_workgroup_info 0
		.amdhsa_system_vgpr_workitem_id 0
		.amdhsa_next_free_vgpr 17
		.amdhsa_next_free_sgpr 18
		.amdhsa_reserve_vcc 1
		.amdhsa_float_round_mode_32 0
		.amdhsa_float_round_mode_16_64 0
		.amdhsa_float_denorm_mode_32 3
		.amdhsa_float_denorm_mode_16_64 3
		.amdhsa_dx10_clamp 1
		.amdhsa_ieee_mode 1
		.amdhsa_fp16_overflow 0
		.amdhsa_workgroup_processor_mode 1
		.amdhsa_memory_ordered 1
		.amdhsa_forward_progress 0
		.amdhsa_shared_vgpr_count 0
		.amdhsa_exception_fp_ieee_invalid_op 0
		.amdhsa_exception_fp_denorm_src 0
		.amdhsa_exception_fp_ieee_div_zero 0
		.amdhsa_exception_fp_ieee_overflow 0
		.amdhsa_exception_fp_ieee_underflow 0
		.amdhsa_exception_fp_ieee_inexact 0
		.amdhsa_exception_int_div_zero 0
	.end_amdhsa_kernel
	.section	.text._ZN9rocsparseL16sddmm_ell_kernelILi512ELi1EdlldddEEv20rocsparse_operation_S1_16rocsparse_order_S2_T3_S3_S3_T2_NS_24const_host_device_scalarIT1_EEPKT4_lPKT5_lS7_PT6_PKS3_21rocsparse_index_base_b,"axG",@progbits,_ZN9rocsparseL16sddmm_ell_kernelILi512ELi1EdlldddEEv20rocsparse_operation_S1_16rocsparse_order_S2_T3_S3_S3_T2_NS_24const_host_device_scalarIT1_EEPKT4_lPKT5_lS7_PT6_PKS3_21rocsparse_index_base_b,comdat
.Lfunc_end47:
	.size	_ZN9rocsparseL16sddmm_ell_kernelILi512ELi1EdlldddEEv20rocsparse_operation_S1_16rocsparse_order_S2_T3_S3_S3_T2_NS_24const_host_device_scalarIT1_EEPKT4_lPKT5_lS7_PT6_PKS3_21rocsparse_index_base_b, .Lfunc_end47-_ZN9rocsparseL16sddmm_ell_kernelILi512ELi1EdlldddEEv20rocsparse_operation_S1_16rocsparse_order_S2_T3_S3_S3_T2_NS_24const_host_device_scalarIT1_EEPKT4_lPKT5_lS7_PT6_PKS3_21rocsparse_index_base_b
                                        ; -- End function
	.section	.AMDGPU.csdata,"",@progbits
; Kernel info:
; codeLenInByte = 1892
; NumSgprs: 20
; NumVgprs: 17
; ScratchSize: 0
; MemoryBound: 0
; FloatMode: 240
; IeeeMode: 1
; LDSByteSize: 4096 bytes/workgroup (compile time only)
; SGPRBlocks: 2
; VGPRBlocks: 2
; NumSGPRsForWavesPerEU: 20
; NumVGPRsForWavesPerEU: 17
; Occupancy: 16
; WaveLimiterHint : 0
; COMPUTE_PGM_RSRC2:SCRATCH_EN: 0
; COMPUTE_PGM_RSRC2:USER_SGPR: 15
; COMPUTE_PGM_RSRC2:TRAP_HANDLER: 0
; COMPUTE_PGM_RSRC2:TGID_X_EN: 1
; COMPUTE_PGM_RSRC2:TGID_Y_EN: 0
; COMPUTE_PGM_RSRC2:TGID_Z_EN: 0
; COMPUTE_PGM_RSRC2:TIDIG_COMP_CNT: 0
	.section	.text._ZN9rocsparseL23sddmm_ell_sample_kernelILi16ELi32E21rocsparse_complex_numIfElS2_EEvT2_S3_PKT3_lS3_PS4_PKS3_21rocsparse_index_base_,"axG",@progbits,_ZN9rocsparseL23sddmm_ell_sample_kernelILi16ELi32E21rocsparse_complex_numIfElS2_EEvT2_S3_PKT3_lS3_PS4_PKS3_21rocsparse_index_base_,comdat
	.globl	_ZN9rocsparseL23sddmm_ell_sample_kernelILi16ELi32E21rocsparse_complex_numIfElS2_EEvT2_S3_PKT3_lS3_PS4_PKS3_21rocsparse_index_base_ ; -- Begin function _ZN9rocsparseL23sddmm_ell_sample_kernelILi16ELi32E21rocsparse_complex_numIfElS2_EEvT2_S3_PKT3_lS3_PS4_PKS3_21rocsparse_index_base_
	.p2align	8
	.type	_ZN9rocsparseL23sddmm_ell_sample_kernelILi16ELi32E21rocsparse_complex_numIfElS2_EEvT2_S3_PKT3_lS3_PS4_PKS3_21rocsparse_index_base_,@function
_ZN9rocsparseL23sddmm_ell_sample_kernelILi16ELi32E21rocsparse_complex_numIfElS2_EEvT2_S3_PKT3_lS3_PS4_PKS3_21rocsparse_index_base_: ; @_ZN9rocsparseL23sddmm_ell_sample_kernelILi16ELi32E21rocsparse_complex_numIfElS2_EEvT2_S3_PKT3_lS3_PS4_PKS3_21rocsparse_index_base_
; %bb.0:
	s_load_b128 s[8:11], s[0:1], 0x18
	v_lshrrev_b32_e32 v2, 5, v0
	v_mov_b32_e32 v1, 0
	s_mov_b32 s2, exec_lo
	s_delay_alu instid0(VALU_DEP_2) | instskip(NEXT) | instid1(VALU_DEP_2)
	v_lshl_or_b32 v2, s15, 4, v2
	v_mov_b32_e32 v3, v1
	s_waitcnt lgkmcnt(0)
	s_delay_alu instid0(VALU_DEP_1)
	v_cmpx_gt_i64_e64 s[10:11], v[2:3]
	s_cbranch_execz .LBB48_6
; %bb.1:
	s_load_b128 s[4:7], s[0:1], 0x0
	v_and_b32_e32 v0, 31, v0
	s_waitcnt lgkmcnt(0)
	s_delay_alu instid0(VALU_DEP_1)
	v_cmp_gt_i64_e32 vcc_lo, s[4:5], v[0:1]
	s_and_b32 exec_lo, exec_lo, vcc_lo
	s_cbranch_execz .LBB48_6
; %bb.2:
	v_mad_u64_u32 v[3:4], null, v2, s4, v[0:1]
	s_clause 0x2
	s_load_b128 s[12:15], s[0:1], 0x28
	s_load_b64 s[2:3], s[0:1], 0x10
	s_load_b32 s1, s[0:1], 0x38
	s_mov_b32 s10, 0
	s_delay_alu instid0(VALU_DEP_1) | instskip(SKIP_1) | instid1(VALU_DEP_2)
	v_mad_u64_u32 v[5:6], null, v2, s5, v[4:5]
	v_lshlrev_b32_e32 v6, 3, v0
	v_mov_b32_e32 v4, v5
	s_delay_alu instid0(VALU_DEP_1) | instskip(SKIP_1) | instid1(VALU_DEP_3)
	v_lshlrev_b64 v[4:5], 3, v[3:4]
	s_waitcnt lgkmcnt(0)
	v_add_co_u32 v6, s0, s2, v6
	s_delay_alu instid0(VALU_DEP_1) | instskip(NEXT) | instid1(VALU_DEP_3)
	v_add_co_ci_u32_e64 v7, null, s3, 0, s0
	v_add_co_u32 v2, vcc_lo, s14, v4
	s_delay_alu instid0(VALU_DEP_4)
	v_add_co_ci_u32_e32 v3, vcc_lo, s15, v5, vcc_lo
	v_add_co_u32 v4, vcc_lo, s12, v4
	v_add_co_ci_u32_e32 v5, vcc_lo, s13, v5, vcc_lo
	s_lshl_b64 s[2:3], s[8:9], 3
	s_set_inst_prefetch_distance 0x1
	s_branch .LBB48_4
	.p2align	6
.LBB48_3:                               ;   in Loop: Header=BB48_4 Depth=1
	s_or_b32 exec_lo, exec_lo, s0
	v_add_co_u32 v0, vcc_lo, v0, 32
	v_add_co_ci_u32_e32 v1, vcc_lo, 0, v1, vcc_lo
	v_add_co_u32 v2, vcc_lo, 0x100, v2
	v_add_co_ci_u32_e32 v3, vcc_lo, 0, v3, vcc_lo
	v_add_co_u32 v4, vcc_lo, 0x100, v4
	v_add_co_ci_u32_e32 v5, vcc_lo, 0, v5, vcc_lo
	v_cmp_le_i64_e32 vcc_lo, s[4:5], v[0:1]
	v_add_co_u32 v6, s0, 0x100, v6
	s_delay_alu instid0(VALU_DEP_1) | instskip(SKIP_1) | instid1(SALU_CYCLE_1)
	v_add_co_ci_u32_e64 v7, s0, 0, v7, s0
	s_or_b32 s10, vcc_lo, s10
	s_and_not1_b32 exec_lo, exec_lo, s10
	s_cbranch_execz .LBB48_6
.LBB48_4:                               ; =>This Inner Loop Header: Depth=1
	global_load_b64 v[8:9], v[2:3], off
	s_waitcnt vmcnt(0)
	v_sub_co_u32 v8, vcc_lo, v8, s1
	v_subrev_co_ci_u32_e32 v9, vcc_lo, 0, v9, vcc_lo
	s_delay_alu instid0(VALU_DEP_1) | instskip(SKIP_1) | instid1(VALU_DEP_1)
	v_cmp_lt_i64_e32 vcc_lo, -1, v[8:9]
	v_cmp_gt_i64_e64 s0, s[6:7], v[8:9]
	s_and_b32 s8, vcc_lo, s0
	s_delay_alu instid0(SALU_CYCLE_1)
	s_and_saveexec_b32 s0, s8
	s_cbranch_execz .LBB48_3
; %bb.5:                                ;   in Loop: Header=BB48_4 Depth=1
	v_mad_u64_u32 v[10:11], null, s2, v8, v[6:7]
	v_mul_lo_u32 v9, s2, v9
	v_mul_lo_u32 v8, s3, v8
	s_delay_alu instid0(VALU_DEP_1)
	v_add3_u32 v11, v8, v11, v9
	global_load_b64 v[8:9], v[10:11], off
	s_waitcnt vmcnt(0)
	global_store_b64 v[4:5], v[8:9], off
	s_branch .LBB48_3
.LBB48_6:
	s_set_inst_prefetch_distance 0x2
	s_nop 0
	s_sendmsg sendmsg(MSG_DEALLOC_VGPRS)
	s_endpgm
	.section	.rodata,"a",@progbits
	.p2align	6, 0x0
	.amdhsa_kernel _ZN9rocsparseL23sddmm_ell_sample_kernelILi16ELi32E21rocsparse_complex_numIfElS2_EEvT2_S3_PKT3_lS3_PS4_PKS3_21rocsparse_index_base_
		.amdhsa_group_segment_fixed_size 0
		.amdhsa_private_segment_fixed_size 0
		.amdhsa_kernarg_size 60
		.amdhsa_user_sgpr_count 15
		.amdhsa_user_sgpr_dispatch_ptr 0
		.amdhsa_user_sgpr_queue_ptr 0
		.amdhsa_user_sgpr_kernarg_segment_ptr 1
		.amdhsa_user_sgpr_dispatch_id 0
		.amdhsa_user_sgpr_private_segment_size 0
		.amdhsa_wavefront_size32 1
		.amdhsa_uses_dynamic_stack 0
		.amdhsa_enable_private_segment 0
		.amdhsa_system_sgpr_workgroup_id_x 1
		.amdhsa_system_sgpr_workgroup_id_y 0
		.amdhsa_system_sgpr_workgroup_id_z 0
		.amdhsa_system_sgpr_workgroup_info 0
		.amdhsa_system_vgpr_workitem_id 0
		.amdhsa_next_free_vgpr 12
		.amdhsa_next_free_sgpr 16
		.amdhsa_reserve_vcc 1
		.amdhsa_float_round_mode_32 0
		.amdhsa_float_round_mode_16_64 0
		.amdhsa_float_denorm_mode_32 3
		.amdhsa_float_denorm_mode_16_64 3
		.amdhsa_dx10_clamp 1
		.amdhsa_ieee_mode 1
		.amdhsa_fp16_overflow 0
		.amdhsa_workgroup_processor_mode 1
		.amdhsa_memory_ordered 1
		.amdhsa_forward_progress 0
		.amdhsa_shared_vgpr_count 0
		.amdhsa_exception_fp_ieee_invalid_op 0
		.amdhsa_exception_fp_denorm_src 0
		.amdhsa_exception_fp_ieee_div_zero 0
		.amdhsa_exception_fp_ieee_overflow 0
		.amdhsa_exception_fp_ieee_underflow 0
		.amdhsa_exception_fp_ieee_inexact 0
		.amdhsa_exception_int_div_zero 0
	.end_amdhsa_kernel
	.section	.text._ZN9rocsparseL23sddmm_ell_sample_kernelILi16ELi32E21rocsparse_complex_numIfElS2_EEvT2_S3_PKT3_lS3_PS4_PKS3_21rocsparse_index_base_,"axG",@progbits,_ZN9rocsparseL23sddmm_ell_sample_kernelILi16ELi32E21rocsparse_complex_numIfElS2_EEvT2_S3_PKT3_lS3_PS4_PKS3_21rocsparse_index_base_,comdat
.Lfunc_end48:
	.size	_ZN9rocsparseL23sddmm_ell_sample_kernelILi16ELi32E21rocsparse_complex_numIfElS2_EEvT2_S3_PKT3_lS3_PS4_PKS3_21rocsparse_index_base_, .Lfunc_end48-_ZN9rocsparseL23sddmm_ell_sample_kernelILi16ELi32E21rocsparse_complex_numIfElS2_EEvT2_S3_PKT3_lS3_PS4_PKS3_21rocsparse_index_base_
                                        ; -- End function
	.section	.AMDGPU.csdata,"",@progbits
; Kernel info:
; codeLenInByte = 444
; NumSgprs: 18
; NumVgprs: 12
; ScratchSize: 0
; MemoryBound: 0
; FloatMode: 240
; IeeeMode: 1
; LDSByteSize: 0 bytes/workgroup (compile time only)
; SGPRBlocks: 2
; VGPRBlocks: 1
; NumSGPRsForWavesPerEU: 18
; NumVGPRsForWavesPerEU: 12
; Occupancy: 16
; WaveLimiterHint : 1
; COMPUTE_PGM_RSRC2:SCRATCH_EN: 0
; COMPUTE_PGM_RSRC2:USER_SGPR: 15
; COMPUTE_PGM_RSRC2:TRAP_HANDLER: 0
; COMPUTE_PGM_RSRC2:TGID_X_EN: 1
; COMPUTE_PGM_RSRC2:TGID_Y_EN: 0
; COMPUTE_PGM_RSRC2:TGID_Z_EN: 0
; COMPUTE_PGM_RSRC2:TIDIG_COMP_CNT: 0
	.section	.text._ZN9rocsparseL23sddmm_ell_sample_kernelILi16ELi64E21rocsparse_complex_numIfElS2_EEvT2_S3_PKT3_lS3_PS4_PKS3_21rocsparse_index_base_,"axG",@progbits,_ZN9rocsparseL23sddmm_ell_sample_kernelILi16ELi64E21rocsparse_complex_numIfElS2_EEvT2_S3_PKT3_lS3_PS4_PKS3_21rocsparse_index_base_,comdat
	.globl	_ZN9rocsparseL23sddmm_ell_sample_kernelILi16ELi64E21rocsparse_complex_numIfElS2_EEvT2_S3_PKT3_lS3_PS4_PKS3_21rocsparse_index_base_ ; -- Begin function _ZN9rocsparseL23sddmm_ell_sample_kernelILi16ELi64E21rocsparse_complex_numIfElS2_EEvT2_S3_PKT3_lS3_PS4_PKS3_21rocsparse_index_base_
	.p2align	8
	.type	_ZN9rocsparseL23sddmm_ell_sample_kernelILi16ELi64E21rocsparse_complex_numIfElS2_EEvT2_S3_PKT3_lS3_PS4_PKS3_21rocsparse_index_base_,@function
_ZN9rocsparseL23sddmm_ell_sample_kernelILi16ELi64E21rocsparse_complex_numIfElS2_EEvT2_S3_PKT3_lS3_PS4_PKS3_21rocsparse_index_base_: ; @_ZN9rocsparseL23sddmm_ell_sample_kernelILi16ELi64E21rocsparse_complex_numIfElS2_EEvT2_S3_PKT3_lS3_PS4_PKS3_21rocsparse_index_base_
; %bb.0:
	s_load_b128 s[8:11], s[0:1], 0x18
	v_lshrrev_b32_e32 v2, 6, v0
	v_mov_b32_e32 v1, 0
	s_mov_b32 s2, exec_lo
	s_delay_alu instid0(VALU_DEP_2) | instskip(NEXT) | instid1(VALU_DEP_2)
	v_lshl_or_b32 v2, s15, 4, v2
	v_mov_b32_e32 v3, v1
	s_waitcnt lgkmcnt(0)
	s_delay_alu instid0(VALU_DEP_1)
	v_cmpx_gt_i64_e64 s[10:11], v[2:3]
	s_cbranch_execz .LBB49_6
; %bb.1:
	s_load_b128 s[4:7], s[0:1], 0x0
	v_and_b32_e32 v0, 63, v0
	s_waitcnt lgkmcnt(0)
	s_delay_alu instid0(VALU_DEP_1)
	v_cmp_gt_i64_e32 vcc_lo, s[4:5], v[0:1]
	s_and_b32 exec_lo, exec_lo, vcc_lo
	s_cbranch_execz .LBB49_6
; %bb.2:
	v_mad_u64_u32 v[3:4], null, v2, s4, v[0:1]
	s_clause 0x2
	s_load_b128 s[12:15], s[0:1], 0x28
	s_load_b64 s[2:3], s[0:1], 0x10
	s_load_b32 s1, s[0:1], 0x38
	s_mov_b32 s10, 0
	s_delay_alu instid0(VALU_DEP_1) | instskip(SKIP_1) | instid1(VALU_DEP_2)
	v_mad_u64_u32 v[5:6], null, v2, s5, v[4:5]
	v_lshlrev_b32_e32 v6, 3, v0
	v_mov_b32_e32 v4, v5
	s_delay_alu instid0(VALU_DEP_1) | instskip(SKIP_1) | instid1(VALU_DEP_3)
	v_lshlrev_b64 v[4:5], 3, v[3:4]
	s_waitcnt lgkmcnt(0)
	v_add_co_u32 v6, s0, s2, v6
	s_delay_alu instid0(VALU_DEP_1) | instskip(NEXT) | instid1(VALU_DEP_3)
	v_add_co_ci_u32_e64 v7, null, s3, 0, s0
	v_add_co_u32 v2, vcc_lo, s14, v4
	s_delay_alu instid0(VALU_DEP_4)
	v_add_co_ci_u32_e32 v3, vcc_lo, s15, v5, vcc_lo
	v_add_co_u32 v4, vcc_lo, s12, v4
	v_add_co_ci_u32_e32 v5, vcc_lo, s13, v5, vcc_lo
	s_lshl_b64 s[2:3], s[8:9], 3
	s_set_inst_prefetch_distance 0x1
	s_branch .LBB49_4
	.p2align	6
.LBB49_3:                               ;   in Loop: Header=BB49_4 Depth=1
	s_or_b32 exec_lo, exec_lo, s0
	v_add_co_u32 v0, vcc_lo, v0, 64
	v_add_co_ci_u32_e32 v1, vcc_lo, 0, v1, vcc_lo
	v_add_co_u32 v2, vcc_lo, 0x200, v2
	v_add_co_ci_u32_e32 v3, vcc_lo, 0, v3, vcc_lo
	;; [unrolled: 2-line block ×3, first 2 shown]
	v_cmp_le_i64_e32 vcc_lo, s[4:5], v[0:1]
	v_add_co_u32 v6, s0, 0x200, v6
	s_delay_alu instid0(VALU_DEP_1) | instskip(SKIP_1) | instid1(SALU_CYCLE_1)
	v_add_co_ci_u32_e64 v7, s0, 0, v7, s0
	s_or_b32 s10, vcc_lo, s10
	s_and_not1_b32 exec_lo, exec_lo, s10
	s_cbranch_execz .LBB49_6
.LBB49_4:                               ; =>This Inner Loop Header: Depth=1
	global_load_b64 v[8:9], v[2:3], off
	s_waitcnt vmcnt(0)
	v_sub_co_u32 v8, vcc_lo, v8, s1
	v_subrev_co_ci_u32_e32 v9, vcc_lo, 0, v9, vcc_lo
	s_delay_alu instid0(VALU_DEP_1) | instskip(SKIP_1) | instid1(VALU_DEP_1)
	v_cmp_lt_i64_e32 vcc_lo, -1, v[8:9]
	v_cmp_gt_i64_e64 s0, s[6:7], v[8:9]
	s_and_b32 s8, vcc_lo, s0
	s_delay_alu instid0(SALU_CYCLE_1)
	s_and_saveexec_b32 s0, s8
	s_cbranch_execz .LBB49_3
; %bb.5:                                ;   in Loop: Header=BB49_4 Depth=1
	v_mad_u64_u32 v[10:11], null, s2, v8, v[6:7]
	v_mul_lo_u32 v9, s2, v9
	v_mul_lo_u32 v8, s3, v8
	s_delay_alu instid0(VALU_DEP_1)
	v_add3_u32 v11, v8, v11, v9
	global_load_b64 v[8:9], v[10:11], off
	s_waitcnt vmcnt(0)
	global_store_b64 v[4:5], v[8:9], off
	s_branch .LBB49_3
.LBB49_6:
	s_set_inst_prefetch_distance 0x2
	s_nop 0
	s_sendmsg sendmsg(MSG_DEALLOC_VGPRS)
	s_endpgm
	.section	.rodata,"a",@progbits
	.p2align	6, 0x0
	.amdhsa_kernel _ZN9rocsparseL23sddmm_ell_sample_kernelILi16ELi64E21rocsparse_complex_numIfElS2_EEvT2_S3_PKT3_lS3_PS4_PKS3_21rocsparse_index_base_
		.amdhsa_group_segment_fixed_size 0
		.amdhsa_private_segment_fixed_size 0
		.amdhsa_kernarg_size 60
		.amdhsa_user_sgpr_count 15
		.amdhsa_user_sgpr_dispatch_ptr 0
		.amdhsa_user_sgpr_queue_ptr 0
		.amdhsa_user_sgpr_kernarg_segment_ptr 1
		.amdhsa_user_sgpr_dispatch_id 0
		.amdhsa_user_sgpr_private_segment_size 0
		.amdhsa_wavefront_size32 1
		.amdhsa_uses_dynamic_stack 0
		.amdhsa_enable_private_segment 0
		.amdhsa_system_sgpr_workgroup_id_x 1
		.amdhsa_system_sgpr_workgroup_id_y 0
		.amdhsa_system_sgpr_workgroup_id_z 0
		.amdhsa_system_sgpr_workgroup_info 0
		.amdhsa_system_vgpr_workitem_id 0
		.amdhsa_next_free_vgpr 12
		.amdhsa_next_free_sgpr 16
		.amdhsa_reserve_vcc 1
		.amdhsa_float_round_mode_32 0
		.amdhsa_float_round_mode_16_64 0
		.amdhsa_float_denorm_mode_32 3
		.amdhsa_float_denorm_mode_16_64 3
		.amdhsa_dx10_clamp 1
		.amdhsa_ieee_mode 1
		.amdhsa_fp16_overflow 0
		.amdhsa_workgroup_processor_mode 1
		.amdhsa_memory_ordered 1
		.amdhsa_forward_progress 0
		.amdhsa_shared_vgpr_count 0
		.amdhsa_exception_fp_ieee_invalid_op 0
		.amdhsa_exception_fp_denorm_src 0
		.amdhsa_exception_fp_ieee_div_zero 0
		.amdhsa_exception_fp_ieee_overflow 0
		.amdhsa_exception_fp_ieee_underflow 0
		.amdhsa_exception_fp_ieee_inexact 0
		.amdhsa_exception_int_div_zero 0
	.end_amdhsa_kernel
	.section	.text._ZN9rocsparseL23sddmm_ell_sample_kernelILi16ELi64E21rocsparse_complex_numIfElS2_EEvT2_S3_PKT3_lS3_PS4_PKS3_21rocsparse_index_base_,"axG",@progbits,_ZN9rocsparseL23sddmm_ell_sample_kernelILi16ELi64E21rocsparse_complex_numIfElS2_EEvT2_S3_PKT3_lS3_PS4_PKS3_21rocsparse_index_base_,comdat
.Lfunc_end49:
	.size	_ZN9rocsparseL23sddmm_ell_sample_kernelILi16ELi64E21rocsparse_complex_numIfElS2_EEvT2_S3_PKT3_lS3_PS4_PKS3_21rocsparse_index_base_, .Lfunc_end49-_ZN9rocsparseL23sddmm_ell_sample_kernelILi16ELi64E21rocsparse_complex_numIfElS2_EEvT2_S3_PKT3_lS3_PS4_PKS3_21rocsparse_index_base_
                                        ; -- End function
	.section	.AMDGPU.csdata,"",@progbits
; Kernel info:
; codeLenInByte = 444
; NumSgprs: 18
; NumVgprs: 12
; ScratchSize: 0
; MemoryBound: 0
; FloatMode: 240
; IeeeMode: 1
; LDSByteSize: 0 bytes/workgroup (compile time only)
; SGPRBlocks: 2
; VGPRBlocks: 1
; NumSGPRsForWavesPerEU: 18
; NumVGPRsForWavesPerEU: 12
; Occupancy: 16
; WaveLimiterHint : 1
; COMPUTE_PGM_RSRC2:SCRATCH_EN: 0
; COMPUTE_PGM_RSRC2:USER_SGPR: 15
; COMPUTE_PGM_RSRC2:TRAP_HANDLER: 0
; COMPUTE_PGM_RSRC2:TGID_X_EN: 1
; COMPUTE_PGM_RSRC2:TGID_Y_EN: 0
; COMPUTE_PGM_RSRC2:TGID_Z_EN: 0
; COMPUTE_PGM_RSRC2:TIDIG_COMP_CNT: 0
	.section	.text._ZN9rocsparseL16sddmm_ell_kernelILi512ELi8E21rocsparse_complex_numIfEllS2_S2_S2_EEv20rocsparse_operation_S3_16rocsparse_order_S4_T3_S5_S5_T2_NS_24const_host_device_scalarIT1_EEPKT4_lPKT5_lS9_PT6_PKS5_21rocsparse_index_base_b,"axG",@progbits,_ZN9rocsparseL16sddmm_ell_kernelILi512ELi8E21rocsparse_complex_numIfEllS2_S2_S2_EEv20rocsparse_operation_S3_16rocsparse_order_S4_T3_S5_S5_T2_NS_24const_host_device_scalarIT1_EEPKT4_lPKT5_lS9_PT6_PKS5_21rocsparse_index_base_b,comdat
	.globl	_ZN9rocsparseL16sddmm_ell_kernelILi512ELi8E21rocsparse_complex_numIfEllS2_S2_S2_EEv20rocsparse_operation_S3_16rocsparse_order_S4_T3_S5_S5_T2_NS_24const_host_device_scalarIT1_EEPKT4_lPKT5_lS9_PT6_PKS5_21rocsparse_index_base_b ; -- Begin function _ZN9rocsparseL16sddmm_ell_kernelILi512ELi8E21rocsparse_complex_numIfEllS2_S2_S2_EEv20rocsparse_operation_S3_16rocsparse_order_S4_T3_S5_S5_T2_NS_24const_host_device_scalarIT1_EEPKT4_lPKT5_lS9_PT6_PKS5_21rocsparse_index_base_b
	.p2align	8
	.type	_ZN9rocsparseL16sddmm_ell_kernelILi512ELi8E21rocsparse_complex_numIfEllS2_S2_S2_EEv20rocsparse_operation_S3_16rocsparse_order_S4_T3_S5_S5_T2_NS_24const_host_device_scalarIT1_EEPKT4_lPKT5_lS9_PT6_PKS5_21rocsparse_index_base_b,@function
_ZN9rocsparseL16sddmm_ell_kernelILi512ELi8E21rocsparse_complex_numIfEllS2_S2_S2_EEv20rocsparse_operation_S3_16rocsparse_order_S4_T3_S5_S5_T2_NS_24const_host_device_scalarIT1_EEPKT4_lPKT5_lS9_PT6_PKS5_21rocsparse_index_base_b: ; @_ZN9rocsparseL16sddmm_ell_kernelILi512ELi8E21rocsparse_complex_numIfEllS2_S2_S2_EEv20rocsparse_operation_S3_16rocsparse_order_S4_T3_S5_S5_T2_NS_24const_host_device_scalarIT1_EEPKT4_lPKT5_lS9_PT6_PKS5_21rocsparse_index_base_b
; %bb.0:
	s_clause 0x1
	s_load_b64 s[12:13], s[0:1], 0x70
	s_load_b64 s[2:3], s[0:1], 0x30
	s_waitcnt lgkmcnt(0)
	s_bitcmp1_b32 s13, 0
	v_mov_b32_e32 v12, s2
	s_cselect_b32 s4, -1, 0
	s_delay_alu instid0(SALU_CYCLE_1)
	s_and_b32 vcc_lo, exec_lo, s4
	s_xor_b32 s4, s4, -1
	s_cbranch_vccnz .LBB50_2
; %bb.1:
	v_dual_mov_b32 v1, s2 :: v_dual_mov_b32 v2, s3
	flat_load_b32 v12, v[1:2]
.LBB50_2:
	s_load_b128 s[8:11], s[0:1], 0x50
	v_cndmask_b32_e64 v1, 0, 1, s4
	v_mov_b32_e32 v13, s3
	s_and_not1_b32 vcc_lo, exec_lo, s4
	s_cbranch_vccz .LBB50_19
; %bb.3:
	s_delay_alu instid0(VALU_DEP_2)
	v_cmp_ne_u32_e32 vcc_lo, 1, v1
	s_waitcnt lgkmcnt(0)
	v_mov_b32_e32 v14, s10
	s_cbranch_vccz .LBB50_20
.LBB50_4:
	v_cmp_ne_u32_e32 vcc_lo, 1, v1
	v_mov_b32_e32 v15, s11
	s_cbranch_vccnz .LBB50_6
.LBB50_5:
	v_dual_mov_b32 v1, s10 :: v_dual_mov_b32 v2, s11
	flat_load_b32 v15, v[1:2] offset:4
.LBB50_6:
	s_waitcnt vmcnt(0)
	v_or_b32_e32 v1, v12, v13
	s_mov_b32 s2, -1
	s_mov_b32 s3, exec_lo
	s_delay_alu instid0(VALU_DEP_1) | instskip(NEXT) | instid1(VALU_DEP_1)
	v_and_b32_e32 v1, 0x7fffffff, v1
	v_cmpx_eq_u32_e32 0, v1
	s_cbranch_execz .LBB50_8
; %bb.7:
	s_waitcnt lgkmcnt(0)
	v_cmp_neq_f32_e32 vcc_lo, 1.0, v14
	v_cmp_neq_f32_e64 s2, 0, v15
	s_delay_alu instid0(VALU_DEP_1) | instskip(NEXT) | instid1(SALU_CYCLE_1)
	s_or_b32 s2, vcc_lo, s2
	s_or_not1_b32 s2, s2, exec_lo
.LBB50_8:
	s_or_b32 exec_lo, exec_lo, s3
	s_and_saveexec_b32 s3, s2
	s_cbranch_execz .LBB50_45
; %bb.9:
	s_load_b128 s[4:7], s[0:1], 0x20
	v_lshrrev_b32_e32 v16, 3, v0
	v_mov_b32_e32 v2, 0
	s_delay_alu instid0(VALU_DEP_2) | instskip(SKIP_1) | instid1(VALU_DEP_1)
	v_lshl_or_b32 v1, s15, 6, v16
	s_waitcnt lgkmcnt(0)
	v_cmp_gt_i64_e32 vcc_lo, s[6:7], v[1:2]
	s_and_b32 exec_lo, exec_lo, vcc_lo
	s_cbranch_execz .LBB50_45
; %bb.10:
	s_clause 0x1
	s_load_b64 s[10:11], s[0:1], 0x10
	s_load_b64 s[6:7], s[0:1], 0x68
	s_mov_b32 s2, 0
                                        ; implicit-def: $vgpr7_vgpr8
	s_waitcnt lgkmcnt(0)
	s_mov_b32 s3, s11
	s_delay_alu instid0(SALU_CYCLE_1) | instskip(SKIP_1) | instid1(SALU_CYCLE_1)
	s_cmp_lg_u64 s[2:3], 0
	s_cselect_b32 s2, -1, 0
	s_and_saveexec_b32 s3, s2
	s_delay_alu instid0(SALU_CYCLE_1)
	s_xor_b32 s3, exec_lo, s3
	s_cbranch_execz .LBB50_12
; %bb.11:
	s_ashr_i32 s14, s11, 31
	s_delay_alu instid0(SALU_CYCLE_1) | instskip(SKIP_2) | instid1(SALU_CYCLE_1)
	s_add_u32 s16, s10, s14
	s_mov_b32 s15, s14
	s_addc_u32 s17, s11, s14
	s_xor_b64 s[14:15], s[16:17], s[14:15]
	s_delay_alu instid0(SALU_CYCLE_1) | instskip(SKIP_3) | instid1(VALU_DEP_1)
	v_cvt_f32_u32_e32 v3, s14
	v_cvt_f32_u32_e32 v4, s15
	s_sub_u32 s2, 0, s14
	s_subb_u32 s11, 0, s15
	v_fmamk_f32 v3, v4, 0x4f800000, v3
	s_delay_alu instid0(VALU_DEP_1) | instskip(SKIP_2) | instid1(VALU_DEP_1)
	v_rcp_f32_e32 v3, v3
	s_waitcnt_depctr 0xfff
	v_mul_f32_e32 v3, 0x5f7ffffc, v3
	v_mul_f32_e32 v4, 0x2f800000, v3
	s_delay_alu instid0(VALU_DEP_1) | instskip(NEXT) | instid1(VALU_DEP_1)
	v_trunc_f32_e32 v4, v4
	v_fmamk_f32 v3, v4, 0xcf800000, v3
	v_cvt_u32_f32_e32 v4, v4
	s_delay_alu instid0(VALU_DEP_2) | instskip(NEXT) | instid1(VALU_DEP_2)
	v_cvt_u32_f32_e32 v3, v3
	v_mul_lo_u32 v5, s2, v4
	s_delay_alu instid0(VALU_DEP_2) | instskip(SKIP_1) | instid1(VALU_DEP_2)
	v_mul_hi_u32 v6, s2, v3
	v_mul_lo_u32 v7, s11, v3
	v_add_nc_u32_e32 v5, v6, v5
	v_mul_lo_u32 v6, s2, v3
	s_delay_alu instid0(VALU_DEP_2) | instskip(NEXT) | instid1(VALU_DEP_2)
	v_add_nc_u32_e32 v5, v5, v7
	v_mul_hi_u32 v7, v3, v6
	s_delay_alu instid0(VALU_DEP_2)
	v_mul_lo_u32 v8, v3, v5
	v_mul_hi_u32 v9, v3, v5
	v_mul_hi_u32 v10, v4, v6
	v_mul_lo_u32 v6, v4, v6
	v_mul_hi_u32 v11, v4, v5
	v_mul_lo_u32 v5, v4, v5
	v_add_co_u32 v7, vcc_lo, v7, v8
	v_add_co_ci_u32_e32 v8, vcc_lo, 0, v9, vcc_lo
	s_delay_alu instid0(VALU_DEP_2) | instskip(NEXT) | instid1(VALU_DEP_2)
	v_add_co_u32 v6, vcc_lo, v7, v6
	v_add_co_ci_u32_e32 v6, vcc_lo, v8, v10, vcc_lo
	v_add_co_ci_u32_e32 v7, vcc_lo, 0, v11, vcc_lo
	s_delay_alu instid0(VALU_DEP_2) | instskip(NEXT) | instid1(VALU_DEP_2)
	v_add_co_u32 v5, vcc_lo, v6, v5
	v_add_co_ci_u32_e32 v6, vcc_lo, 0, v7, vcc_lo
	s_delay_alu instid0(VALU_DEP_2) | instskip(NEXT) | instid1(VALU_DEP_2)
	v_add_co_u32 v3, vcc_lo, v3, v5
	v_add_co_ci_u32_e32 v4, vcc_lo, v4, v6, vcc_lo
	s_delay_alu instid0(VALU_DEP_2) | instskip(SKIP_1) | instid1(VALU_DEP_3)
	v_mul_hi_u32 v5, s2, v3
	v_mul_lo_u32 v7, s11, v3
	v_mul_lo_u32 v6, s2, v4
	s_delay_alu instid0(VALU_DEP_1) | instskip(SKIP_1) | instid1(VALU_DEP_2)
	v_add_nc_u32_e32 v5, v5, v6
	v_mul_lo_u32 v6, s2, v3
	v_add_nc_u32_e32 v5, v5, v7
	s_delay_alu instid0(VALU_DEP_2) | instskip(NEXT) | instid1(VALU_DEP_2)
	v_mul_hi_u32 v7, v3, v6
	v_mul_lo_u32 v8, v3, v5
	v_mul_hi_u32 v9, v3, v5
	v_mul_hi_u32 v10, v4, v6
	v_mul_lo_u32 v6, v4, v6
	v_mul_hi_u32 v11, v4, v5
	v_mul_lo_u32 v5, v4, v5
	v_add_co_u32 v7, vcc_lo, v7, v8
	v_add_co_ci_u32_e32 v8, vcc_lo, 0, v9, vcc_lo
	s_delay_alu instid0(VALU_DEP_2) | instskip(NEXT) | instid1(VALU_DEP_2)
	v_add_co_u32 v6, vcc_lo, v7, v6
	v_add_co_ci_u32_e32 v6, vcc_lo, v8, v10, vcc_lo
	v_add_co_ci_u32_e32 v7, vcc_lo, 0, v11, vcc_lo
	s_delay_alu instid0(VALU_DEP_2) | instskip(NEXT) | instid1(VALU_DEP_2)
	v_add_co_u32 v5, vcc_lo, v6, v5
	v_add_co_ci_u32_e32 v6, vcc_lo, 0, v7, vcc_lo
	s_delay_alu instid0(VALU_DEP_2) | instskip(NEXT) | instid1(VALU_DEP_2)
	v_add_co_u32 v7, vcc_lo, v3, v5
	v_add_co_ci_u32_e32 v9, vcc_lo, v4, v6, vcc_lo
	s_delay_alu instid0(VALU_DEP_2) | instskip(SKIP_1) | instid1(VALU_DEP_3)
	v_mul_hi_u32 v10, v1, v7
	v_mad_u64_u32 v[5:6], null, 0, v7, 0
	v_mad_u64_u32 v[3:4], null, v1, v9, 0
	;; [unrolled: 1-line block ×3, first 2 shown]
	s_delay_alu instid0(VALU_DEP_2) | instskip(NEXT) | instid1(VALU_DEP_3)
	v_add_co_u32 v3, vcc_lo, v10, v3
	v_add_co_ci_u32_e32 v4, vcc_lo, 0, v4, vcc_lo
	s_delay_alu instid0(VALU_DEP_2) | instskip(NEXT) | instid1(VALU_DEP_2)
	v_add_co_u32 v3, vcc_lo, v3, v5
	v_add_co_ci_u32_e32 v3, vcc_lo, v4, v6, vcc_lo
	v_add_co_ci_u32_e32 v4, vcc_lo, 0, v8, vcc_lo
	s_delay_alu instid0(VALU_DEP_2) | instskip(NEXT) | instid1(VALU_DEP_2)
	v_add_co_u32 v5, vcc_lo, v3, v7
	v_add_co_ci_u32_e32 v6, vcc_lo, 0, v4, vcc_lo
	s_delay_alu instid0(VALU_DEP_2) | instskip(SKIP_1) | instid1(VALU_DEP_3)
	v_mul_lo_u32 v7, s15, v5
	v_mad_u64_u32 v[3:4], null, s14, v5, 0
	v_mul_lo_u32 v5, s14, v6
	s_delay_alu instid0(VALU_DEP_2) | instskip(NEXT) | instid1(VALU_DEP_2)
	v_sub_co_u32 v3, vcc_lo, v1, v3
	v_add3_u32 v4, v4, v5, v7
	s_delay_alu instid0(VALU_DEP_1) | instskip(NEXT) | instid1(VALU_DEP_1)
	v_sub_nc_u32_e32 v5, 0, v4
	v_subrev_co_ci_u32_e64 v5, s2, s15, v5, vcc_lo
	v_sub_co_ci_u32_e32 v4, vcc_lo, 0, v4, vcc_lo
	v_sub_co_u32 v6, vcc_lo, v3, s14
	s_delay_alu instid0(VALU_DEP_1) | instskip(SKIP_3) | instid1(VALU_DEP_3)
	v_subrev_co_ci_u32_e64 v7, s2, 0, v5, vcc_lo
	v_cmp_le_u32_e64 s2, s14, v3
	v_subrev_co_ci_u32_e32 v5, vcc_lo, s15, v5, vcc_lo
	v_cmp_le_u32_e32 vcc_lo, s15, v4
	v_cndmask_b32_e64 v8, 0, -1, s2
	v_cmp_le_u32_e64 s2, s14, v6
	v_cndmask_b32_e64 v11, 0, -1, vcc_lo
	v_cmp_eq_u32_e32 vcc_lo, s15, v7
	s_delay_alu instid0(VALU_DEP_3) | instskip(SKIP_1) | instid1(VALU_DEP_1)
	v_cndmask_b32_e64 v9, 0, -1, s2
	v_cmp_le_u32_e64 s2, s15, v7
	v_cndmask_b32_e64 v10, 0, -1, s2
	v_cmp_eq_u32_e64 s2, s15, v4
	s_delay_alu instid0(VALU_DEP_2) | instskip(SKIP_2) | instid1(VALU_DEP_3)
	v_cndmask_b32_e32 v9, v10, v9, vcc_lo
	v_sub_co_u32 v10, vcc_lo, v6, s14
	v_subrev_co_ci_u32_e32 v5, vcc_lo, 0, v5, vcc_lo
	v_cmp_ne_u32_e32 vcc_lo, 0, v9
	v_cndmask_b32_e64 v8, v11, v8, s2
	s_delay_alu instid0(VALU_DEP_3) | instskip(NEXT) | instid1(VALU_DEP_2)
	v_dual_cndmask_b32 v5, v7, v5 :: v_dual_cndmask_b32 v6, v6, v10
	v_cmp_ne_u32_e32 vcc_lo, 0, v8
	s_delay_alu instid0(VALU_DEP_2) | instskip(NEXT) | instid1(VALU_DEP_1)
	v_dual_cndmask_b32 v3, v3, v6 :: v_dual_cndmask_b32 v4, v4, v5
	v_sub_co_u32 v7, vcc_lo, v3, 0
	s_delay_alu instid0(VALU_DEP_2)
	v_subrev_co_ci_u32_e32 v8, vcc_lo, 0, v4, vcc_lo
.LBB50_12:
	s_and_not1_saveexec_b32 s2, s3
	s_cbranch_execz .LBB50_14
; %bb.13:
	v_cvt_f32_u32_e32 v3, s10
	s_sub_i32 s3, 0, s10
	v_mov_b32_e32 v8, 0
	s_delay_alu instid0(VALU_DEP_2) | instskip(SKIP_2) | instid1(VALU_DEP_1)
	v_rcp_iflag_f32_e32 v3, v3
	s_waitcnt_depctr 0xfff
	v_mul_f32_e32 v3, 0x4f7ffffe, v3
	v_cvt_u32_f32_e32 v3, v3
	s_delay_alu instid0(VALU_DEP_1) | instskip(NEXT) | instid1(VALU_DEP_1)
	v_mul_lo_u32 v4, s3, v3
	v_mul_hi_u32 v4, v3, v4
	s_delay_alu instid0(VALU_DEP_1) | instskip(NEXT) | instid1(VALU_DEP_1)
	v_add_nc_u32_e32 v3, v3, v4
	v_mul_hi_u32 v3, v1, v3
	s_delay_alu instid0(VALU_DEP_1) | instskip(NEXT) | instid1(VALU_DEP_1)
	v_mul_lo_u32 v3, v3, s10
	v_sub_nc_u32_e32 v3, v1, v3
	s_delay_alu instid0(VALU_DEP_1) | instskip(SKIP_1) | instid1(VALU_DEP_2)
	v_subrev_nc_u32_e32 v4, s10, v3
	v_cmp_le_u32_e32 vcc_lo, s10, v3
	v_cndmask_b32_e32 v3, v3, v4, vcc_lo
	s_delay_alu instid0(VALU_DEP_1) | instskip(SKIP_1) | instid1(VALU_DEP_2)
	v_subrev_nc_u32_e32 v4, s10, v3
	v_cmp_le_u32_e32 vcc_lo, s10, v3
	v_cndmask_b32_e32 v7, v3, v4, vcc_lo
.LBB50_14:
	s_or_b32 exec_lo, exec_lo, s2
	v_lshlrev_b64 v[1:2], 3, v[1:2]
	s_delay_alu instid0(VALU_DEP_1) | instskip(NEXT) | instid1(VALU_DEP_2)
	v_add_co_u32 v3, vcc_lo, s6, v1
	v_add_co_ci_u32_e32 v4, vcc_lo, s7, v2, vcc_lo
	global_load_b64 v[3:4], v[3:4], off
	s_waitcnt vmcnt(0)
	v_sub_co_u32 v3, vcc_lo, v3, s12
	v_subrev_co_ci_u32_e32 v4, vcc_lo, 0, v4, vcc_lo
	s_delay_alu instid0(VALU_DEP_1)
	v_cmp_lt_i64_e32 vcc_lo, -1, v[3:4]
	s_and_b32 exec_lo, exec_lo, vcc_lo
	s_cbranch_execz .LBB50_45
; %bb.15:
	s_clause 0x1
	s_load_b128 s[12:15], s[0:1], 0x0
	s_load_b64 s[6:7], s[0:1], 0x40
	s_waitcnt lgkmcnt(0)
	s_cmp_eq_u32 s14, 1
	s_cselect_b32 s10, -1, 0
	s_cmpk_eq_i32 s12, 0x6f
	s_cselect_b32 s11, -1, 0
	s_cmpk_lg_i32 s12, 0x6f
	s_cselect_b32 s2, -1, 0
	s_cmp_lg_u32 s14, 1
	s_cbranch_scc0 .LBB50_21
; %bb.16:
	v_dual_mov_b32 v5, v7 :: v_dual_mov_b32 v6, v8
	s_and_not1_b32 vcc_lo, exec_lo, s11
	s_cbranch_vccnz .LBB50_18
; %bb.17:
	v_mul_lo_u32 v9, v8, s6
	v_mul_lo_u32 v10, v7, s7
	v_mad_u64_u32 v[5:6], null, v7, s6, 0
	s_delay_alu instid0(VALU_DEP_1)
	v_add3_u32 v6, v6, v10, v9
.LBB50_18:
	s_cbranch_execz .LBB50_22
	s_branch .LBB50_25
.LBB50_19:
	v_dual_mov_b32 v2, s2 :: v_dual_mov_b32 v3, s3
	flat_load_b32 v13, v[2:3] offset:4
	v_cmp_ne_u32_e32 vcc_lo, 1, v1
	s_waitcnt lgkmcnt(0)
	v_mov_b32_e32 v14, s10
	s_cbranch_vccnz .LBB50_4
.LBB50_20:
	v_dual_mov_b32 v2, s10 :: v_dual_mov_b32 v3, s11
	flat_load_b32 v14, v[2:3]
	v_cmp_ne_u32_e32 vcc_lo, 1, v1
	v_mov_b32_e32 v15, s11
	s_cbranch_vccz .LBB50_5
	s_branch .LBB50_6
.LBB50_21:
                                        ; implicit-def: $vgpr5_vgpr6
.LBB50_22:
	s_and_not1_b32 vcc_lo, exec_lo, s2
	s_cbranch_vccnz .LBB50_24
; %bb.23:
	v_mul_lo_u32 v8, v8, s6
	v_mul_lo_u32 v9, v7, s7
	v_mad_u64_u32 v[5:6], null, v7, s6, 0
	s_delay_alu instid0(VALU_DEP_1) | instskip(NEXT) | instid1(VALU_DEP_1)
	v_add3_u32 v6, v6, v9, v8
	v_dual_mov_b32 v8, v6 :: v_dual_mov_b32 v7, v5
.LBB50_24:
	s_delay_alu instid0(VALU_DEP_1)
	v_dual_mov_b32 v5, v7 :: v_dual_mov_b32 v6, v8
.LBB50_25:
	s_cmp_eq_u32 s15, 1
	s_cselect_b32 s14, -1, 0
	s_cmpk_eq_i32 s13, 0x6f
	s_cselect_b32 s16, -1, 0
	s_cmpk_lg_i32 s13, 0x6f
	s_cselect_b32 s2, -1, 0
	s_cmp_lg_u32 s15, 1
	s_cbranch_scc0 .LBB50_29
; %bb.26:
	v_dual_mov_b32 v9, v4 :: v_dual_mov_b32 v8, v3
	s_and_not1_b32 vcc_lo, exec_lo, s2
	s_cbranch_vccnz .LBB50_28
; %bb.27:
	v_mul_lo_u32 v7, v4, s8
	v_mul_lo_u32 v10, v3, s9
	v_mad_u64_u32 v[8:9], null, v3, s8, 0
	s_delay_alu instid0(VALU_DEP_1)
	v_add3_u32 v9, v9, v10, v7
.LBB50_28:
	s_cbranch_execz .LBB50_30
	s_branch .LBB50_33
.LBB50_29:
                                        ; implicit-def: $vgpr8_vgpr9
.LBB50_30:
	s_and_not1_b32 vcc_lo, exec_lo, s16
	s_cbranch_vccnz .LBB50_32
; %bb.31:
	v_mul_lo_u32 v4, v4, s8
	v_mul_lo_u32 v9, v3, s9
	v_mad_u64_u32 v[7:8], null, v3, s8, 0
	s_delay_alu instid0(VALU_DEP_1) | instskip(NEXT) | instid1(VALU_DEP_1)
	v_add3_u32 v8, v8, v9, v4
	v_dual_mov_b32 v3, v7 :: v_dual_mov_b32 v4, v8
.LBB50_32:
	s_delay_alu instid0(VALU_DEP_1)
	v_dual_mov_b32 v9, v4 :: v_dual_mov_b32 v8, v3
.LBB50_33:
	s_load_b64 s[2:3], s[0:1], 0x60
	v_dual_mov_b32 v4, 0 :: v_dual_and_b32 v3, 7, v0
	s_mov_b32 s13, 0
	s_mov_b32 s12, exec_lo
	s_delay_alu instid0(VALU_DEP_1) | instskip(NEXT) | instid1(VALU_DEP_2)
	v_mov_b32_e32 v7, v4
	v_cmpx_gt_i64_e64 s[4:5], v[3:4]
	s_cbranch_execz .LBB50_37
; %bb.34:
	s_xor_b32 s10, s11, s10
	s_delay_alu instid0(SALU_CYCLE_1)
	s_and_b32 s10, s10, exec_lo
	s_cselect_b32 s11, 0, s7
	s_cselect_b32 s10, 1, s6
	s_xor_b32 s6, s16, s14
	v_mad_u64_u32 v[17:18], null, s10, v3, 0
	s_and_b32 s6, s6, exec_lo
	s_cselect_b32 s6, s8, 1
	s_cselect_b32 s7, s9, 0
	v_mad_u64_u32 v[10:11], null, s6, v3, 0
	s_clause 0x1
	s_load_b64 s[8:9], s[0:1], 0x48
	s_load_b64 s[0:1], s[0:1], 0x38
	s_delay_alu instid0(VALU_DEP_1) | instskip(NEXT) | instid1(VALU_DEP_1)
	v_dual_mov_b32 v7, v18 :: v_dual_mov_b32 v0, v11
	v_mad_u64_u32 v[18:19], null, s7, v3, v[0:1]
	s_delay_alu instid0(VALU_DEP_2) | instskip(SKIP_3) | instid1(VALU_DEP_3)
	v_mad_u64_u32 v[19:20], null, s11, v3, v[7:8]
	v_lshlrev_b64 v[8:9], 3, v[8:9]
	v_mov_b32_e32 v7, 0
	s_lshl_b64 s[6:7], s[6:7], 6
	v_dual_mov_b32 v11, v18 :: v_dual_mov_b32 v18, v19
	v_lshlrev_b64 v[19:20], 3, v[5:6]
	v_mov_b32_e32 v6, v4
	s_delay_alu instid0(VALU_DEP_3) | instskip(SKIP_2) | instid1(VALU_DEP_3)
	v_lshlrev_b64 v[10:11], 3, v[10:11]
	v_mov_b32_e32 v5, v3
	v_lshlrev_b64 v[17:18], 3, v[17:18]
	v_add_co_u32 v0, vcc_lo, v10, v8
	s_delay_alu instid0(VALU_DEP_4) | instskip(NEXT) | instid1(VALU_DEP_3)
	v_add_co_ci_u32_e32 v4, vcc_lo, v11, v9, vcc_lo
	v_add_co_u32 v8, vcc_lo, v17, v19
	s_delay_alu instid0(VALU_DEP_4)
	v_add_co_ci_u32_e32 v9, vcc_lo, v18, v20, vcc_lo
	s_waitcnt lgkmcnt(0)
	v_add_co_u32 v0, vcc_lo, v0, s8
	v_add_co_ci_u32_e32 v4, vcc_lo, s9, v4, vcc_lo
	v_add_co_u32 v8, vcc_lo, s0, v8
	v_add_co_ci_u32_e32 v9, vcc_lo, s1, v9, vcc_lo
	s_delay_alu instid0(VALU_DEP_4) | instskip(NEXT) | instid1(VALU_DEP_4)
	v_add_co_u32 v10, vcc_lo, v0, 4
	v_add_co_ci_u32_e32 v11, vcc_lo, 0, v4, vcc_lo
	v_mov_b32_e32 v4, v7
	s_lshl_b64 s[8:9], s[10:11], 6
	.p2align	6
.LBB50_35:                              ; =>This Inner Loop Header: Depth=1
	global_load_b64 v[17:18], v[8:9], off
	global_load_b64 v[19:20], v[10:11], off offset:-4
	v_add_co_u32 v5, vcc_lo, v5, 8
	v_add_co_ci_u32_e32 v6, vcc_lo, 0, v6, vcc_lo
	v_add_co_u32 v10, vcc_lo, v10, s6
	v_add_co_ci_u32_e32 v11, vcc_lo, s7, v11, vcc_lo
	s_delay_alu instid0(VALU_DEP_3) | instskip(SKIP_2) | instid1(VALU_DEP_3)
	v_cmp_le_i64_e64 s0, s[4:5], v[5:6]
	v_add_co_u32 v8, vcc_lo, v8, s8
	v_add_co_ci_u32_e32 v9, vcc_lo, s9, v9, vcc_lo
	s_or_b32 s13, s0, s13
	s_waitcnt vmcnt(0)
	v_mul_f32_e64 v0, v20, -v18
	s_delay_alu instid0(VALU_DEP_1) | instskip(NEXT) | instid1(VALU_DEP_1)
	v_fmac_f32_e32 v0, v17, v19
	v_dual_mul_f32 v20, v20, v17 :: v_dual_add_f32 v7, v7, v0
	s_delay_alu instid0(VALU_DEP_1) | instskip(NEXT) | instid1(VALU_DEP_1)
	v_fmac_f32_e32 v20, v18, v19
	v_add_f32_e32 v4, v4, v20
	s_and_not1_b32 exec_lo, exec_lo, s13
	s_cbranch_execnz .LBB50_35
; %bb.36:
	s_or_b32 exec_lo, exec_lo, s13
.LBB50_37:
	s_delay_alu instid0(SALU_CYCLE_1) | instskip(SKIP_3) | instid1(VALU_DEP_2)
	s_or_b32 exec_lo, exec_lo, s12
	v_lshlrev_b32_e32 v0, 3, v3
	v_mov_b32_e32 v8, v4
	s_mov_b32 s0, exec_lo
	v_lshl_or_b32 v0, v16, 6, v0
	ds_store_b64 v0, v[7:8]
	s_waitcnt lgkmcnt(0)
	s_barrier
	buffer_gl0_inv
	v_cmpx_gt_u32_e32 4, v3
	s_cbranch_execz .LBB50_39
; %bb.38:
	ds_load_2addr_b64 v[4:7], v0 offset1:4
	s_waitcnt lgkmcnt(0)
	v_dual_add_f32 v4, v6, v4 :: v_dual_add_f32 v5, v7, v5
	ds_store_b64 v0, v[4:5]
.LBB50_39:
	s_or_b32 exec_lo, exec_lo, s0
	s_delay_alu instid0(SALU_CYCLE_1)
	s_mov_b32 s0, exec_lo
	s_waitcnt lgkmcnt(0)
	s_barrier
	buffer_gl0_inv
	v_cmpx_gt_u32_e32 2, v3
	s_cbranch_execz .LBB50_41
; %bb.40:
	ds_load_2addr_b64 v[4:7], v0 offset1:2
	s_waitcnt lgkmcnt(0)
	v_dual_add_f32 v4, v6, v4 :: v_dual_add_f32 v5, v7, v5
	ds_store_b64 v0, v[4:5]
.LBB50_41:
	s_or_b32 exec_lo, exec_lo, s0
	v_cmp_eq_u32_e32 vcc_lo, 0, v3
	v_lshlrev_b32_e32 v3, 6, v16
	s_waitcnt lgkmcnt(0)
	s_barrier
	buffer_gl0_inv
	s_and_saveexec_b32 s0, vcc_lo
	s_cbranch_execz .LBB50_43
; %bb.42:
	ds_load_b64 v[4:5], v3 offset:8
	ds_load_b64 v[6:7], v0
	s_waitcnt lgkmcnt(0)
	v_dual_add_f32 v4, v4, v6 :: v_dual_add_f32 v5, v5, v7
	ds_store_b64 v0, v[4:5]
.LBB50_43:
	s_or_b32 exec_lo, exec_lo, s0
	s_waitcnt lgkmcnt(0)
	s_barrier
	buffer_gl0_inv
	s_and_b32 exec_lo, exec_lo, vcc_lo
	s_cbranch_execz .LBB50_45
; %bb.44:
	v_add_co_u32 v0, vcc_lo, s2, v1
	v_add_co_ci_u32_e32 v1, vcc_lo, s3, v2, vcc_lo
	ds_load_b64 v[2:3], v3
	global_load_b64 v[4:5], v[0:1], off
	s_waitcnt lgkmcnt(0)
	v_mul_f32_e64 v6, v3, -v13
	s_delay_alu instid0(VALU_DEP_1) | instskip(NEXT) | instid1(VALU_DEP_1)
	v_dual_mul_f32 v3, v3, v12 :: v_dual_fmac_f32 v6, v12, v2
	v_fmac_f32_e32 v3, v13, v2
	s_waitcnt vmcnt(0)
	v_mul_f32_e64 v7, v15, -v5
	s_delay_alu instid0(VALU_DEP_1) | instskip(NEXT) | instid1(VALU_DEP_1)
	v_dual_mul_f32 v8, v15, v4 :: v_dual_fmac_f32 v7, v4, v14
	v_fmac_f32_e32 v8, v5, v14
	s_delay_alu instid0(VALU_DEP_2) | instskip(NEXT) | instid1(VALU_DEP_2)
	v_add_f32_e32 v2, v6, v7
	v_add_f32_e32 v3, v8, v3
	global_store_b64 v[0:1], v[2:3], off
.LBB50_45:
	s_nop 0
	s_sendmsg sendmsg(MSG_DEALLOC_VGPRS)
	s_endpgm
	.section	.rodata,"a",@progbits
	.p2align	6, 0x0
	.amdhsa_kernel _ZN9rocsparseL16sddmm_ell_kernelILi512ELi8E21rocsparse_complex_numIfEllS2_S2_S2_EEv20rocsparse_operation_S3_16rocsparse_order_S4_T3_S5_S5_T2_NS_24const_host_device_scalarIT1_EEPKT4_lPKT5_lS9_PT6_PKS5_21rocsparse_index_base_b
		.amdhsa_group_segment_fixed_size 4096
		.amdhsa_private_segment_fixed_size 0
		.amdhsa_kernarg_size 120
		.amdhsa_user_sgpr_count 15
		.amdhsa_user_sgpr_dispatch_ptr 0
		.amdhsa_user_sgpr_queue_ptr 0
		.amdhsa_user_sgpr_kernarg_segment_ptr 1
		.amdhsa_user_sgpr_dispatch_id 0
		.amdhsa_user_sgpr_private_segment_size 0
		.amdhsa_wavefront_size32 1
		.amdhsa_uses_dynamic_stack 0
		.amdhsa_enable_private_segment 0
		.amdhsa_system_sgpr_workgroup_id_x 1
		.amdhsa_system_sgpr_workgroup_id_y 0
		.amdhsa_system_sgpr_workgroup_id_z 0
		.amdhsa_system_sgpr_workgroup_info 0
		.amdhsa_system_vgpr_workitem_id 0
		.amdhsa_next_free_vgpr 21
		.amdhsa_next_free_sgpr 18
		.amdhsa_reserve_vcc 1
		.amdhsa_float_round_mode_32 0
		.amdhsa_float_round_mode_16_64 0
		.amdhsa_float_denorm_mode_32 3
		.amdhsa_float_denorm_mode_16_64 3
		.amdhsa_dx10_clamp 1
		.amdhsa_ieee_mode 1
		.amdhsa_fp16_overflow 0
		.amdhsa_workgroup_processor_mode 1
		.amdhsa_memory_ordered 1
		.amdhsa_forward_progress 0
		.amdhsa_shared_vgpr_count 0
		.amdhsa_exception_fp_ieee_invalid_op 0
		.amdhsa_exception_fp_denorm_src 0
		.amdhsa_exception_fp_ieee_div_zero 0
		.amdhsa_exception_fp_ieee_overflow 0
		.amdhsa_exception_fp_ieee_underflow 0
		.amdhsa_exception_fp_ieee_inexact 0
		.amdhsa_exception_int_div_zero 0
	.end_amdhsa_kernel
	.section	.text._ZN9rocsparseL16sddmm_ell_kernelILi512ELi8E21rocsparse_complex_numIfEllS2_S2_S2_EEv20rocsparse_operation_S3_16rocsparse_order_S4_T3_S5_S5_T2_NS_24const_host_device_scalarIT1_EEPKT4_lPKT5_lS9_PT6_PKS5_21rocsparse_index_base_b,"axG",@progbits,_ZN9rocsparseL16sddmm_ell_kernelILi512ELi8E21rocsparse_complex_numIfEllS2_S2_S2_EEv20rocsparse_operation_S3_16rocsparse_order_S4_T3_S5_S5_T2_NS_24const_host_device_scalarIT1_EEPKT4_lPKT5_lS9_PT6_PKS5_21rocsparse_index_base_b,comdat
.Lfunc_end50:
	.size	_ZN9rocsparseL16sddmm_ell_kernelILi512ELi8E21rocsparse_complex_numIfEllS2_S2_S2_EEv20rocsparse_operation_S3_16rocsparse_order_S4_T3_S5_S5_T2_NS_24const_host_device_scalarIT1_EEPKT4_lPKT5_lS9_PT6_PKS5_21rocsparse_index_base_b, .Lfunc_end50-_ZN9rocsparseL16sddmm_ell_kernelILi512ELi8E21rocsparse_complex_numIfEllS2_S2_S2_EEv20rocsparse_operation_S3_16rocsparse_order_S4_T3_S5_S5_T2_NS_24const_host_device_scalarIT1_EEPKT4_lPKT5_lS9_PT6_PKS5_21rocsparse_index_base_b
                                        ; -- End function
	.section	.AMDGPU.csdata,"",@progbits
; Kernel info:
; codeLenInByte = 2484
; NumSgprs: 20
; NumVgprs: 21
; ScratchSize: 0
; MemoryBound: 0
; FloatMode: 240
; IeeeMode: 1
; LDSByteSize: 4096 bytes/workgroup (compile time only)
; SGPRBlocks: 2
; VGPRBlocks: 2
; NumSGPRsForWavesPerEU: 20
; NumVGPRsForWavesPerEU: 21
; Occupancy: 16
; WaveLimiterHint : 0
; COMPUTE_PGM_RSRC2:SCRATCH_EN: 0
; COMPUTE_PGM_RSRC2:USER_SGPR: 15
; COMPUTE_PGM_RSRC2:TRAP_HANDLER: 0
; COMPUTE_PGM_RSRC2:TGID_X_EN: 1
; COMPUTE_PGM_RSRC2:TGID_Y_EN: 0
; COMPUTE_PGM_RSRC2:TGID_Z_EN: 0
; COMPUTE_PGM_RSRC2:TIDIG_COMP_CNT: 0
	.section	.text._ZN9rocsparseL16sddmm_ell_kernelILi512ELi4E21rocsparse_complex_numIfEllS2_S2_S2_EEv20rocsparse_operation_S3_16rocsparse_order_S4_T3_S5_S5_T2_NS_24const_host_device_scalarIT1_EEPKT4_lPKT5_lS9_PT6_PKS5_21rocsparse_index_base_b,"axG",@progbits,_ZN9rocsparseL16sddmm_ell_kernelILi512ELi4E21rocsparse_complex_numIfEllS2_S2_S2_EEv20rocsparse_operation_S3_16rocsparse_order_S4_T3_S5_S5_T2_NS_24const_host_device_scalarIT1_EEPKT4_lPKT5_lS9_PT6_PKS5_21rocsparse_index_base_b,comdat
	.globl	_ZN9rocsparseL16sddmm_ell_kernelILi512ELi4E21rocsparse_complex_numIfEllS2_S2_S2_EEv20rocsparse_operation_S3_16rocsparse_order_S4_T3_S5_S5_T2_NS_24const_host_device_scalarIT1_EEPKT4_lPKT5_lS9_PT6_PKS5_21rocsparse_index_base_b ; -- Begin function _ZN9rocsparseL16sddmm_ell_kernelILi512ELi4E21rocsparse_complex_numIfEllS2_S2_S2_EEv20rocsparse_operation_S3_16rocsparse_order_S4_T3_S5_S5_T2_NS_24const_host_device_scalarIT1_EEPKT4_lPKT5_lS9_PT6_PKS5_21rocsparse_index_base_b
	.p2align	8
	.type	_ZN9rocsparseL16sddmm_ell_kernelILi512ELi4E21rocsparse_complex_numIfEllS2_S2_S2_EEv20rocsparse_operation_S3_16rocsparse_order_S4_T3_S5_S5_T2_NS_24const_host_device_scalarIT1_EEPKT4_lPKT5_lS9_PT6_PKS5_21rocsparse_index_base_b,@function
_ZN9rocsparseL16sddmm_ell_kernelILi512ELi4E21rocsparse_complex_numIfEllS2_S2_S2_EEv20rocsparse_operation_S3_16rocsparse_order_S4_T3_S5_S5_T2_NS_24const_host_device_scalarIT1_EEPKT4_lPKT5_lS9_PT6_PKS5_21rocsparse_index_base_b: ; @_ZN9rocsparseL16sddmm_ell_kernelILi512ELi4E21rocsparse_complex_numIfEllS2_S2_S2_EEv20rocsparse_operation_S3_16rocsparse_order_S4_T3_S5_S5_T2_NS_24const_host_device_scalarIT1_EEPKT4_lPKT5_lS9_PT6_PKS5_21rocsparse_index_base_b
; %bb.0:
	s_clause 0x1
	s_load_b64 s[12:13], s[0:1], 0x70
	s_load_b64 s[2:3], s[0:1], 0x30
	s_waitcnt lgkmcnt(0)
	s_bitcmp1_b32 s13, 0
	v_mov_b32_e32 v12, s2
	s_cselect_b32 s4, -1, 0
	s_delay_alu instid0(SALU_CYCLE_1)
	s_and_b32 vcc_lo, exec_lo, s4
	s_xor_b32 s4, s4, -1
	s_cbranch_vccnz .LBB51_2
; %bb.1:
	v_dual_mov_b32 v1, s2 :: v_dual_mov_b32 v2, s3
	flat_load_b32 v12, v[1:2]
.LBB51_2:
	s_load_b128 s[8:11], s[0:1], 0x50
	v_cndmask_b32_e64 v1, 0, 1, s4
	v_mov_b32_e32 v13, s3
	s_and_not1_b32 vcc_lo, exec_lo, s4
	s_cbranch_vccz .LBB51_19
; %bb.3:
	s_delay_alu instid0(VALU_DEP_2)
	v_cmp_ne_u32_e32 vcc_lo, 1, v1
	s_waitcnt lgkmcnt(0)
	v_mov_b32_e32 v14, s10
	s_cbranch_vccz .LBB51_20
.LBB51_4:
	v_cmp_ne_u32_e32 vcc_lo, 1, v1
	v_mov_b32_e32 v15, s11
	s_cbranch_vccnz .LBB51_6
.LBB51_5:
	v_dual_mov_b32 v1, s10 :: v_dual_mov_b32 v2, s11
	flat_load_b32 v15, v[1:2] offset:4
.LBB51_6:
	s_waitcnt vmcnt(0)
	v_or_b32_e32 v1, v12, v13
	s_mov_b32 s2, -1
	s_mov_b32 s3, exec_lo
	s_delay_alu instid0(VALU_DEP_1) | instskip(NEXT) | instid1(VALU_DEP_1)
	v_and_b32_e32 v1, 0x7fffffff, v1
	v_cmpx_eq_u32_e32 0, v1
	s_cbranch_execz .LBB51_8
; %bb.7:
	s_waitcnt lgkmcnt(0)
	v_cmp_neq_f32_e32 vcc_lo, 1.0, v14
	v_cmp_neq_f32_e64 s2, 0, v15
	s_delay_alu instid0(VALU_DEP_1) | instskip(NEXT) | instid1(SALU_CYCLE_1)
	s_or_b32 s2, vcc_lo, s2
	s_or_not1_b32 s2, s2, exec_lo
.LBB51_8:
	s_or_b32 exec_lo, exec_lo, s3
	s_and_saveexec_b32 s3, s2
	s_cbranch_execz .LBB51_43
; %bb.9:
	s_load_b128 s[4:7], s[0:1], 0x20
	v_lshrrev_b32_e32 v16, 2, v0
	v_mov_b32_e32 v2, 0
	s_delay_alu instid0(VALU_DEP_2) | instskip(SKIP_1) | instid1(VALU_DEP_1)
	v_lshl_or_b32 v1, s15, 7, v16
	s_waitcnt lgkmcnt(0)
	v_cmp_gt_i64_e32 vcc_lo, s[6:7], v[1:2]
	s_and_b32 exec_lo, exec_lo, vcc_lo
	s_cbranch_execz .LBB51_43
; %bb.10:
	s_clause 0x1
	s_load_b64 s[10:11], s[0:1], 0x10
	s_load_b64 s[6:7], s[0:1], 0x68
	s_mov_b32 s2, 0
                                        ; implicit-def: $vgpr7_vgpr8
	s_waitcnt lgkmcnt(0)
	s_mov_b32 s3, s11
	s_delay_alu instid0(SALU_CYCLE_1) | instskip(SKIP_1) | instid1(SALU_CYCLE_1)
	s_cmp_lg_u64 s[2:3], 0
	s_cselect_b32 s2, -1, 0
	s_and_saveexec_b32 s3, s2
	s_delay_alu instid0(SALU_CYCLE_1)
	s_xor_b32 s3, exec_lo, s3
	s_cbranch_execz .LBB51_12
; %bb.11:
	s_ashr_i32 s14, s11, 31
	s_delay_alu instid0(SALU_CYCLE_1) | instskip(SKIP_2) | instid1(SALU_CYCLE_1)
	s_add_u32 s16, s10, s14
	s_mov_b32 s15, s14
	s_addc_u32 s17, s11, s14
	s_xor_b64 s[14:15], s[16:17], s[14:15]
	s_delay_alu instid0(SALU_CYCLE_1) | instskip(SKIP_3) | instid1(VALU_DEP_1)
	v_cvt_f32_u32_e32 v3, s14
	v_cvt_f32_u32_e32 v4, s15
	s_sub_u32 s2, 0, s14
	s_subb_u32 s11, 0, s15
	v_fmamk_f32 v3, v4, 0x4f800000, v3
	s_delay_alu instid0(VALU_DEP_1) | instskip(SKIP_2) | instid1(VALU_DEP_1)
	v_rcp_f32_e32 v3, v3
	s_waitcnt_depctr 0xfff
	v_mul_f32_e32 v3, 0x5f7ffffc, v3
	v_mul_f32_e32 v4, 0x2f800000, v3
	s_delay_alu instid0(VALU_DEP_1) | instskip(NEXT) | instid1(VALU_DEP_1)
	v_trunc_f32_e32 v4, v4
	v_fmamk_f32 v3, v4, 0xcf800000, v3
	v_cvt_u32_f32_e32 v4, v4
	s_delay_alu instid0(VALU_DEP_2) | instskip(NEXT) | instid1(VALU_DEP_2)
	v_cvt_u32_f32_e32 v3, v3
	v_mul_lo_u32 v5, s2, v4
	s_delay_alu instid0(VALU_DEP_2) | instskip(SKIP_1) | instid1(VALU_DEP_2)
	v_mul_hi_u32 v6, s2, v3
	v_mul_lo_u32 v7, s11, v3
	v_add_nc_u32_e32 v5, v6, v5
	v_mul_lo_u32 v6, s2, v3
	s_delay_alu instid0(VALU_DEP_2) | instskip(NEXT) | instid1(VALU_DEP_2)
	v_add_nc_u32_e32 v5, v5, v7
	v_mul_hi_u32 v7, v3, v6
	s_delay_alu instid0(VALU_DEP_2)
	v_mul_lo_u32 v8, v3, v5
	v_mul_hi_u32 v9, v3, v5
	v_mul_hi_u32 v10, v4, v6
	v_mul_lo_u32 v6, v4, v6
	v_mul_hi_u32 v11, v4, v5
	v_mul_lo_u32 v5, v4, v5
	v_add_co_u32 v7, vcc_lo, v7, v8
	v_add_co_ci_u32_e32 v8, vcc_lo, 0, v9, vcc_lo
	s_delay_alu instid0(VALU_DEP_2) | instskip(NEXT) | instid1(VALU_DEP_2)
	v_add_co_u32 v6, vcc_lo, v7, v6
	v_add_co_ci_u32_e32 v6, vcc_lo, v8, v10, vcc_lo
	v_add_co_ci_u32_e32 v7, vcc_lo, 0, v11, vcc_lo
	s_delay_alu instid0(VALU_DEP_2) | instskip(NEXT) | instid1(VALU_DEP_2)
	v_add_co_u32 v5, vcc_lo, v6, v5
	v_add_co_ci_u32_e32 v6, vcc_lo, 0, v7, vcc_lo
	s_delay_alu instid0(VALU_DEP_2) | instskip(NEXT) | instid1(VALU_DEP_2)
	v_add_co_u32 v3, vcc_lo, v3, v5
	v_add_co_ci_u32_e32 v4, vcc_lo, v4, v6, vcc_lo
	s_delay_alu instid0(VALU_DEP_2) | instskip(SKIP_1) | instid1(VALU_DEP_3)
	v_mul_hi_u32 v5, s2, v3
	v_mul_lo_u32 v7, s11, v3
	v_mul_lo_u32 v6, s2, v4
	s_delay_alu instid0(VALU_DEP_1) | instskip(SKIP_1) | instid1(VALU_DEP_2)
	v_add_nc_u32_e32 v5, v5, v6
	v_mul_lo_u32 v6, s2, v3
	v_add_nc_u32_e32 v5, v5, v7
	s_delay_alu instid0(VALU_DEP_2) | instskip(NEXT) | instid1(VALU_DEP_2)
	v_mul_hi_u32 v7, v3, v6
	v_mul_lo_u32 v8, v3, v5
	v_mul_hi_u32 v9, v3, v5
	v_mul_hi_u32 v10, v4, v6
	v_mul_lo_u32 v6, v4, v6
	v_mul_hi_u32 v11, v4, v5
	v_mul_lo_u32 v5, v4, v5
	v_add_co_u32 v7, vcc_lo, v7, v8
	v_add_co_ci_u32_e32 v8, vcc_lo, 0, v9, vcc_lo
	s_delay_alu instid0(VALU_DEP_2) | instskip(NEXT) | instid1(VALU_DEP_2)
	v_add_co_u32 v6, vcc_lo, v7, v6
	v_add_co_ci_u32_e32 v6, vcc_lo, v8, v10, vcc_lo
	v_add_co_ci_u32_e32 v7, vcc_lo, 0, v11, vcc_lo
	s_delay_alu instid0(VALU_DEP_2) | instskip(NEXT) | instid1(VALU_DEP_2)
	v_add_co_u32 v5, vcc_lo, v6, v5
	v_add_co_ci_u32_e32 v6, vcc_lo, 0, v7, vcc_lo
	s_delay_alu instid0(VALU_DEP_2) | instskip(NEXT) | instid1(VALU_DEP_2)
	v_add_co_u32 v7, vcc_lo, v3, v5
	v_add_co_ci_u32_e32 v9, vcc_lo, v4, v6, vcc_lo
	s_delay_alu instid0(VALU_DEP_2) | instskip(SKIP_1) | instid1(VALU_DEP_3)
	v_mul_hi_u32 v10, v1, v7
	v_mad_u64_u32 v[5:6], null, 0, v7, 0
	v_mad_u64_u32 v[3:4], null, v1, v9, 0
	;; [unrolled: 1-line block ×3, first 2 shown]
	s_delay_alu instid0(VALU_DEP_2) | instskip(NEXT) | instid1(VALU_DEP_3)
	v_add_co_u32 v3, vcc_lo, v10, v3
	v_add_co_ci_u32_e32 v4, vcc_lo, 0, v4, vcc_lo
	s_delay_alu instid0(VALU_DEP_2) | instskip(NEXT) | instid1(VALU_DEP_2)
	v_add_co_u32 v3, vcc_lo, v3, v5
	v_add_co_ci_u32_e32 v3, vcc_lo, v4, v6, vcc_lo
	v_add_co_ci_u32_e32 v4, vcc_lo, 0, v8, vcc_lo
	s_delay_alu instid0(VALU_DEP_2) | instskip(NEXT) | instid1(VALU_DEP_2)
	v_add_co_u32 v5, vcc_lo, v3, v7
	v_add_co_ci_u32_e32 v6, vcc_lo, 0, v4, vcc_lo
	s_delay_alu instid0(VALU_DEP_2) | instskip(SKIP_1) | instid1(VALU_DEP_3)
	v_mul_lo_u32 v7, s15, v5
	v_mad_u64_u32 v[3:4], null, s14, v5, 0
	v_mul_lo_u32 v5, s14, v6
	s_delay_alu instid0(VALU_DEP_2) | instskip(NEXT) | instid1(VALU_DEP_2)
	v_sub_co_u32 v3, vcc_lo, v1, v3
	v_add3_u32 v4, v4, v5, v7
	s_delay_alu instid0(VALU_DEP_1) | instskip(NEXT) | instid1(VALU_DEP_1)
	v_sub_nc_u32_e32 v5, 0, v4
	v_subrev_co_ci_u32_e64 v5, s2, s15, v5, vcc_lo
	v_sub_co_ci_u32_e32 v4, vcc_lo, 0, v4, vcc_lo
	v_sub_co_u32 v6, vcc_lo, v3, s14
	s_delay_alu instid0(VALU_DEP_1) | instskip(SKIP_3) | instid1(VALU_DEP_3)
	v_subrev_co_ci_u32_e64 v7, s2, 0, v5, vcc_lo
	v_cmp_le_u32_e64 s2, s14, v3
	v_subrev_co_ci_u32_e32 v5, vcc_lo, s15, v5, vcc_lo
	v_cmp_le_u32_e32 vcc_lo, s15, v4
	v_cndmask_b32_e64 v8, 0, -1, s2
	v_cmp_le_u32_e64 s2, s14, v6
	v_cndmask_b32_e64 v11, 0, -1, vcc_lo
	v_cmp_eq_u32_e32 vcc_lo, s15, v7
	s_delay_alu instid0(VALU_DEP_3) | instskip(SKIP_1) | instid1(VALU_DEP_1)
	v_cndmask_b32_e64 v9, 0, -1, s2
	v_cmp_le_u32_e64 s2, s15, v7
	v_cndmask_b32_e64 v10, 0, -1, s2
	v_cmp_eq_u32_e64 s2, s15, v4
	s_delay_alu instid0(VALU_DEP_2) | instskip(SKIP_2) | instid1(VALU_DEP_3)
	v_cndmask_b32_e32 v9, v10, v9, vcc_lo
	v_sub_co_u32 v10, vcc_lo, v6, s14
	v_subrev_co_ci_u32_e32 v5, vcc_lo, 0, v5, vcc_lo
	v_cmp_ne_u32_e32 vcc_lo, 0, v9
	v_cndmask_b32_e64 v8, v11, v8, s2
	s_delay_alu instid0(VALU_DEP_3) | instskip(NEXT) | instid1(VALU_DEP_2)
	v_dual_cndmask_b32 v5, v7, v5 :: v_dual_cndmask_b32 v6, v6, v10
	v_cmp_ne_u32_e32 vcc_lo, 0, v8
	s_delay_alu instid0(VALU_DEP_2) | instskip(NEXT) | instid1(VALU_DEP_1)
	v_dual_cndmask_b32 v3, v3, v6 :: v_dual_cndmask_b32 v4, v4, v5
	v_sub_co_u32 v7, vcc_lo, v3, 0
	s_delay_alu instid0(VALU_DEP_2)
	v_subrev_co_ci_u32_e32 v8, vcc_lo, 0, v4, vcc_lo
.LBB51_12:
	s_and_not1_saveexec_b32 s2, s3
	s_cbranch_execz .LBB51_14
; %bb.13:
	v_cvt_f32_u32_e32 v3, s10
	s_sub_i32 s3, 0, s10
	v_mov_b32_e32 v8, 0
	s_delay_alu instid0(VALU_DEP_2) | instskip(SKIP_2) | instid1(VALU_DEP_1)
	v_rcp_iflag_f32_e32 v3, v3
	s_waitcnt_depctr 0xfff
	v_mul_f32_e32 v3, 0x4f7ffffe, v3
	v_cvt_u32_f32_e32 v3, v3
	s_delay_alu instid0(VALU_DEP_1) | instskip(NEXT) | instid1(VALU_DEP_1)
	v_mul_lo_u32 v4, s3, v3
	v_mul_hi_u32 v4, v3, v4
	s_delay_alu instid0(VALU_DEP_1) | instskip(NEXT) | instid1(VALU_DEP_1)
	v_add_nc_u32_e32 v3, v3, v4
	v_mul_hi_u32 v3, v1, v3
	s_delay_alu instid0(VALU_DEP_1) | instskip(NEXT) | instid1(VALU_DEP_1)
	v_mul_lo_u32 v3, v3, s10
	v_sub_nc_u32_e32 v3, v1, v3
	s_delay_alu instid0(VALU_DEP_1) | instskip(SKIP_1) | instid1(VALU_DEP_2)
	v_subrev_nc_u32_e32 v4, s10, v3
	v_cmp_le_u32_e32 vcc_lo, s10, v3
	v_cndmask_b32_e32 v3, v3, v4, vcc_lo
	s_delay_alu instid0(VALU_DEP_1) | instskip(SKIP_1) | instid1(VALU_DEP_2)
	v_subrev_nc_u32_e32 v4, s10, v3
	v_cmp_le_u32_e32 vcc_lo, s10, v3
	v_cndmask_b32_e32 v7, v3, v4, vcc_lo
.LBB51_14:
	s_or_b32 exec_lo, exec_lo, s2
	v_lshlrev_b64 v[1:2], 3, v[1:2]
	s_delay_alu instid0(VALU_DEP_1) | instskip(NEXT) | instid1(VALU_DEP_2)
	v_add_co_u32 v3, vcc_lo, s6, v1
	v_add_co_ci_u32_e32 v4, vcc_lo, s7, v2, vcc_lo
	global_load_b64 v[3:4], v[3:4], off
	s_waitcnt vmcnt(0)
	v_sub_co_u32 v3, vcc_lo, v3, s12
	v_subrev_co_ci_u32_e32 v4, vcc_lo, 0, v4, vcc_lo
	s_delay_alu instid0(VALU_DEP_1)
	v_cmp_lt_i64_e32 vcc_lo, -1, v[3:4]
	s_and_b32 exec_lo, exec_lo, vcc_lo
	s_cbranch_execz .LBB51_43
; %bb.15:
	s_clause 0x1
	s_load_b128 s[12:15], s[0:1], 0x0
	s_load_b64 s[6:7], s[0:1], 0x40
	s_waitcnt lgkmcnt(0)
	s_cmp_eq_u32 s14, 1
	s_cselect_b32 s10, -1, 0
	s_cmpk_eq_i32 s12, 0x6f
	s_cselect_b32 s11, -1, 0
	s_cmpk_lg_i32 s12, 0x6f
	s_cselect_b32 s2, -1, 0
	s_cmp_lg_u32 s14, 1
	s_cbranch_scc0 .LBB51_21
; %bb.16:
	v_dual_mov_b32 v5, v7 :: v_dual_mov_b32 v6, v8
	s_and_not1_b32 vcc_lo, exec_lo, s11
	s_cbranch_vccnz .LBB51_18
; %bb.17:
	v_mul_lo_u32 v9, v8, s6
	v_mul_lo_u32 v10, v7, s7
	v_mad_u64_u32 v[5:6], null, v7, s6, 0
	s_delay_alu instid0(VALU_DEP_1)
	v_add3_u32 v6, v6, v10, v9
.LBB51_18:
	s_cbranch_execz .LBB51_22
	s_branch .LBB51_25
.LBB51_19:
	v_dual_mov_b32 v2, s2 :: v_dual_mov_b32 v3, s3
	flat_load_b32 v13, v[2:3] offset:4
	v_cmp_ne_u32_e32 vcc_lo, 1, v1
	s_waitcnt lgkmcnt(0)
	v_mov_b32_e32 v14, s10
	s_cbranch_vccnz .LBB51_4
.LBB51_20:
	v_dual_mov_b32 v2, s10 :: v_dual_mov_b32 v3, s11
	flat_load_b32 v14, v[2:3]
	v_cmp_ne_u32_e32 vcc_lo, 1, v1
	v_mov_b32_e32 v15, s11
	s_cbranch_vccz .LBB51_5
	s_branch .LBB51_6
.LBB51_21:
                                        ; implicit-def: $vgpr5_vgpr6
.LBB51_22:
	s_and_not1_b32 vcc_lo, exec_lo, s2
	s_cbranch_vccnz .LBB51_24
; %bb.23:
	v_mul_lo_u32 v8, v8, s6
	v_mul_lo_u32 v9, v7, s7
	v_mad_u64_u32 v[5:6], null, v7, s6, 0
	s_delay_alu instid0(VALU_DEP_1) | instskip(NEXT) | instid1(VALU_DEP_1)
	v_add3_u32 v6, v6, v9, v8
	v_dual_mov_b32 v8, v6 :: v_dual_mov_b32 v7, v5
.LBB51_24:
	s_delay_alu instid0(VALU_DEP_1)
	v_dual_mov_b32 v5, v7 :: v_dual_mov_b32 v6, v8
.LBB51_25:
	s_cmp_eq_u32 s15, 1
	s_cselect_b32 s14, -1, 0
	s_cmpk_eq_i32 s13, 0x6f
	s_cselect_b32 s16, -1, 0
	s_cmpk_lg_i32 s13, 0x6f
	s_cselect_b32 s2, -1, 0
	s_cmp_lg_u32 s15, 1
	s_cbranch_scc0 .LBB51_29
; %bb.26:
	v_dual_mov_b32 v9, v4 :: v_dual_mov_b32 v8, v3
	s_and_not1_b32 vcc_lo, exec_lo, s2
	s_cbranch_vccnz .LBB51_28
; %bb.27:
	v_mul_lo_u32 v7, v4, s8
	v_mul_lo_u32 v10, v3, s9
	v_mad_u64_u32 v[8:9], null, v3, s8, 0
	s_delay_alu instid0(VALU_DEP_1)
	v_add3_u32 v9, v9, v10, v7
.LBB51_28:
	s_cbranch_execz .LBB51_30
	s_branch .LBB51_33
.LBB51_29:
                                        ; implicit-def: $vgpr8_vgpr9
.LBB51_30:
	s_and_not1_b32 vcc_lo, exec_lo, s16
	s_cbranch_vccnz .LBB51_32
; %bb.31:
	v_mul_lo_u32 v4, v4, s8
	v_mul_lo_u32 v9, v3, s9
	v_mad_u64_u32 v[7:8], null, v3, s8, 0
	s_delay_alu instid0(VALU_DEP_1) | instskip(NEXT) | instid1(VALU_DEP_1)
	v_add3_u32 v8, v8, v9, v4
	v_dual_mov_b32 v3, v7 :: v_dual_mov_b32 v4, v8
.LBB51_32:
	s_delay_alu instid0(VALU_DEP_1)
	v_dual_mov_b32 v9, v4 :: v_dual_mov_b32 v8, v3
.LBB51_33:
	s_load_b64 s[2:3], s[0:1], 0x60
	v_dual_mov_b32 v4, 0 :: v_dual_and_b32 v3, 3, v0
	s_mov_b32 s13, 0
	s_mov_b32 s12, exec_lo
	s_delay_alu instid0(VALU_DEP_1) | instskip(NEXT) | instid1(VALU_DEP_2)
	v_mov_b32_e32 v7, v4
	v_cmpx_gt_i64_e64 s[4:5], v[3:4]
	s_cbranch_execz .LBB51_37
; %bb.34:
	s_xor_b32 s10, s11, s10
	s_delay_alu instid0(SALU_CYCLE_1)
	s_and_b32 s10, s10, exec_lo
	s_cselect_b32 s11, 0, s7
	s_cselect_b32 s10, 1, s6
	s_xor_b32 s6, s16, s14
	v_mad_u64_u32 v[17:18], null, s10, v3, 0
	s_and_b32 s6, s6, exec_lo
	s_cselect_b32 s6, s8, 1
	s_cselect_b32 s7, s9, 0
	v_mad_u64_u32 v[10:11], null, s6, v3, 0
	s_clause 0x1
	s_load_b64 s[8:9], s[0:1], 0x48
	s_load_b64 s[0:1], s[0:1], 0x38
	s_delay_alu instid0(VALU_DEP_1) | instskip(NEXT) | instid1(VALU_DEP_1)
	v_dual_mov_b32 v7, v18 :: v_dual_mov_b32 v0, v11
	v_mad_u64_u32 v[18:19], null, s7, v3, v[0:1]
	s_delay_alu instid0(VALU_DEP_2) | instskip(SKIP_3) | instid1(VALU_DEP_3)
	v_mad_u64_u32 v[19:20], null, s11, v3, v[7:8]
	v_lshlrev_b64 v[8:9], 3, v[8:9]
	v_mov_b32_e32 v7, 0
	s_lshl_b64 s[6:7], s[6:7], 5
	v_dual_mov_b32 v11, v18 :: v_dual_mov_b32 v18, v19
	v_lshlrev_b64 v[19:20], 3, v[5:6]
	v_mov_b32_e32 v6, v4
	s_delay_alu instid0(VALU_DEP_3) | instskip(SKIP_2) | instid1(VALU_DEP_3)
	v_lshlrev_b64 v[10:11], 3, v[10:11]
	v_mov_b32_e32 v5, v3
	v_lshlrev_b64 v[17:18], 3, v[17:18]
	v_add_co_u32 v0, vcc_lo, v10, v8
	s_delay_alu instid0(VALU_DEP_4) | instskip(NEXT) | instid1(VALU_DEP_3)
	v_add_co_ci_u32_e32 v4, vcc_lo, v11, v9, vcc_lo
	v_add_co_u32 v8, vcc_lo, v17, v19
	s_delay_alu instid0(VALU_DEP_4)
	v_add_co_ci_u32_e32 v9, vcc_lo, v18, v20, vcc_lo
	s_waitcnt lgkmcnt(0)
	v_add_co_u32 v0, vcc_lo, v0, s8
	v_add_co_ci_u32_e32 v4, vcc_lo, s9, v4, vcc_lo
	v_add_co_u32 v8, vcc_lo, s0, v8
	v_add_co_ci_u32_e32 v9, vcc_lo, s1, v9, vcc_lo
	s_delay_alu instid0(VALU_DEP_4) | instskip(NEXT) | instid1(VALU_DEP_4)
	v_add_co_u32 v10, vcc_lo, v0, 4
	v_add_co_ci_u32_e32 v11, vcc_lo, 0, v4, vcc_lo
	v_mov_b32_e32 v4, v7
	s_lshl_b64 s[8:9], s[10:11], 5
	.p2align	6
.LBB51_35:                              ; =>This Inner Loop Header: Depth=1
	global_load_b64 v[17:18], v[8:9], off
	global_load_b64 v[19:20], v[10:11], off offset:-4
	v_add_co_u32 v5, vcc_lo, v5, 4
	v_add_co_ci_u32_e32 v6, vcc_lo, 0, v6, vcc_lo
	v_add_co_u32 v10, vcc_lo, v10, s6
	v_add_co_ci_u32_e32 v11, vcc_lo, s7, v11, vcc_lo
	s_delay_alu instid0(VALU_DEP_3) | instskip(SKIP_2) | instid1(VALU_DEP_3)
	v_cmp_le_i64_e64 s0, s[4:5], v[5:6]
	v_add_co_u32 v8, vcc_lo, v8, s8
	v_add_co_ci_u32_e32 v9, vcc_lo, s9, v9, vcc_lo
	s_or_b32 s13, s0, s13
	s_waitcnt vmcnt(0)
	v_mul_f32_e64 v0, v20, -v18
	s_delay_alu instid0(VALU_DEP_1) | instskip(NEXT) | instid1(VALU_DEP_1)
	v_fmac_f32_e32 v0, v17, v19
	v_dual_mul_f32 v20, v20, v17 :: v_dual_add_f32 v7, v7, v0
	s_delay_alu instid0(VALU_DEP_1) | instskip(NEXT) | instid1(VALU_DEP_1)
	v_fmac_f32_e32 v20, v18, v19
	v_add_f32_e32 v4, v4, v20
	s_and_not1_b32 exec_lo, exec_lo, s13
	s_cbranch_execnz .LBB51_35
; %bb.36:
	s_or_b32 exec_lo, exec_lo, s13
.LBB51_37:
	s_delay_alu instid0(SALU_CYCLE_1) | instskip(SKIP_3) | instid1(VALU_DEP_2)
	s_or_b32 exec_lo, exec_lo, s12
	v_lshlrev_b32_e32 v0, 3, v3
	v_mov_b32_e32 v8, v4
	s_mov_b32 s0, exec_lo
	v_lshl_or_b32 v0, v16, 5, v0
	ds_store_b64 v0, v[7:8]
	s_waitcnt lgkmcnt(0)
	s_barrier
	buffer_gl0_inv
	v_cmpx_gt_u32_e32 2, v3
	s_cbranch_execz .LBB51_39
; %bb.38:
	ds_load_2addr_b64 v[4:7], v0 offset1:2
	s_waitcnt lgkmcnt(0)
	v_dual_add_f32 v4, v6, v4 :: v_dual_add_f32 v5, v7, v5
	ds_store_b64 v0, v[4:5]
.LBB51_39:
	s_or_b32 exec_lo, exec_lo, s0
	v_cmp_eq_u32_e32 vcc_lo, 0, v3
	v_lshlrev_b32_e32 v3, 5, v16
	s_waitcnt lgkmcnt(0)
	s_barrier
	buffer_gl0_inv
	s_and_saveexec_b32 s0, vcc_lo
	s_cbranch_execz .LBB51_41
; %bb.40:
	ds_load_b64 v[4:5], v3 offset:8
	ds_load_b64 v[6:7], v0
	s_waitcnt lgkmcnt(0)
	v_dual_add_f32 v4, v4, v6 :: v_dual_add_f32 v5, v5, v7
	ds_store_b64 v0, v[4:5]
.LBB51_41:
	s_or_b32 exec_lo, exec_lo, s0
	s_waitcnt lgkmcnt(0)
	s_barrier
	buffer_gl0_inv
	s_and_b32 exec_lo, exec_lo, vcc_lo
	s_cbranch_execz .LBB51_43
; %bb.42:
	v_add_co_u32 v0, vcc_lo, s2, v1
	v_add_co_ci_u32_e32 v1, vcc_lo, s3, v2, vcc_lo
	ds_load_b64 v[2:3], v3
	global_load_b64 v[4:5], v[0:1], off
	s_waitcnt lgkmcnt(0)
	v_mul_f32_e64 v6, v3, -v13
	s_delay_alu instid0(VALU_DEP_1) | instskip(NEXT) | instid1(VALU_DEP_1)
	v_dual_mul_f32 v3, v3, v12 :: v_dual_fmac_f32 v6, v12, v2
	v_fmac_f32_e32 v3, v13, v2
	s_waitcnt vmcnt(0)
	v_mul_f32_e64 v7, v15, -v5
	s_delay_alu instid0(VALU_DEP_1) | instskip(NEXT) | instid1(VALU_DEP_1)
	v_dual_mul_f32 v8, v15, v4 :: v_dual_fmac_f32 v7, v4, v14
	v_fmac_f32_e32 v8, v5, v14
	s_delay_alu instid0(VALU_DEP_2) | instskip(NEXT) | instid1(VALU_DEP_2)
	v_add_f32_e32 v2, v6, v7
	v_add_f32_e32 v3, v8, v3
	global_store_b64 v[0:1], v[2:3], off
.LBB51_43:
	s_nop 0
	s_sendmsg sendmsg(MSG_DEALLOC_VGPRS)
	s_endpgm
	.section	.rodata,"a",@progbits
	.p2align	6, 0x0
	.amdhsa_kernel _ZN9rocsparseL16sddmm_ell_kernelILi512ELi4E21rocsparse_complex_numIfEllS2_S2_S2_EEv20rocsparse_operation_S3_16rocsparse_order_S4_T3_S5_S5_T2_NS_24const_host_device_scalarIT1_EEPKT4_lPKT5_lS9_PT6_PKS5_21rocsparse_index_base_b
		.amdhsa_group_segment_fixed_size 4096
		.amdhsa_private_segment_fixed_size 0
		.amdhsa_kernarg_size 120
		.amdhsa_user_sgpr_count 15
		.amdhsa_user_sgpr_dispatch_ptr 0
		.amdhsa_user_sgpr_queue_ptr 0
		.amdhsa_user_sgpr_kernarg_segment_ptr 1
		.amdhsa_user_sgpr_dispatch_id 0
		.amdhsa_user_sgpr_private_segment_size 0
		.amdhsa_wavefront_size32 1
		.amdhsa_uses_dynamic_stack 0
		.amdhsa_enable_private_segment 0
		.amdhsa_system_sgpr_workgroup_id_x 1
		.amdhsa_system_sgpr_workgroup_id_y 0
		.amdhsa_system_sgpr_workgroup_id_z 0
		.amdhsa_system_sgpr_workgroup_info 0
		.amdhsa_system_vgpr_workitem_id 0
		.amdhsa_next_free_vgpr 21
		.amdhsa_next_free_sgpr 18
		.amdhsa_reserve_vcc 1
		.amdhsa_float_round_mode_32 0
		.amdhsa_float_round_mode_16_64 0
		.amdhsa_float_denorm_mode_32 3
		.amdhsa_float_denorm_mode_16_64 3
		.amdhsa_dx10_clamp 1
		.amdhsa_ieee_mode 1
		.amdhsa_fp16_overflow 0
		.amdhsa_workgroup_processor_mode 1
		.amdhsa_memory_ordered 1
		.amdhsa_forward_progress 0
		.amdhsa_shared_vgpr_count 0
		.amdhsa_exception_fp_ieee_invalid_op 0
		.amdhsa_exception_fp_denorm_src 0
		.amdhsa_exception_fp_ieee_div_zero 0
		.amdhsa_exception_fp_ieee_overflow 0
		.amdhsa_exception_fp_ieee_underflow 0
		.amdhsa_exception_fp_ieee_inexact 0
		.amdhsa_exception_int_div_zero 0
	.end_amdhsa_kernel
	.section	.text._ZN9rocsparseL16sddmm_ell_kernelILi512ELi4E21rocsparse_complex_numIfEllS2_S2_S2_EEv20rocsparse_operation_S3_16rocsparse_order_S4_T3_S5_S5_T2_NS_24const_host_device_scalarIT1_EEPKT4_lPKT5_lS9_PT6_PKS5_21rocsparse_index_base_b,"axG",@progbits,_ZN9rocsparseL16sddmm_ell_kernelILi512ELi4E21rocsparse_complex_numIfEllS2_S2_S2_EEv20rocsparse_operation_S3_16rocsparse_order_S4_T3_S5_S5_T2_NS_24const_host_device_scalarIT1_EEPKT4_lPKT5_lS9_PT6_PKS5_21rocsparse_index_base_b,comdat
.Lfunc_end51:
	.size	_ZN9rocsparseL16sddmm_ell_kernelILi512ELi4E21rocsparse_complex_numIfEllS2_S2_S2_EEv20rocsparse_operation_S3_16rocsparse_order_S4_T3_S5_S5_T2_NS_24const_host_device_scalarIT1_EEPKT4_lPKT5_lS9_PT6_PKS5_21rocsparse_index_base_b, .Lfunc_end51-_ZN9rocsparseL16sddmm_ell_kernelILi512ELi4E21rocsparse_complex_numIfEllS2_S2_S2_EEv20rocsparse_operation_S3_16rocsparse_order_S4_T3_S5_S5_T2_NS_24const_host_device_scalarIT1_EEPKT4_lPKT5_lS9_PT6_PKS5_21rocsparse_index_base_b
                                        ; -- End function
	.section	.AMDGPU.csdata,"",@progbits
; Kernel info:
; codeLenInByte = 2420
; NumSgprs: 20
; NumVgprs: 21
; ScratchSize: 0
; MemoryBound: 0
; FloatMode: 240
; IeeeMode: 1
; LDSByteSize: 4096 bytes/workgroup (compile time only)
; SGPRBlocks: 2
; VGPRBlocks: 2
; NumSGPRsForWavesPerEU: 20
; NumVGPRsForWavesPerEU: 21
; Occupancy: 16
; WaveLimiterHint : 0
; COMPUTE_PGM_RSRC2:SCRATCH_EN: 0
; COMPUTE_PGM_RSRC2:USER_SGPR: 15
; COMPUTE_PGM_RSRC2:TRAP_HANDLER: 0
; COMPUTE_PGM_RSRC2:TGID_X_EN: 1
; COMPUTE_PGM_RSRC2:TGID_Y_EN: 0
; COMPUTE_PGM_RSRC2:TGID_Z_EN: 0
; COMPUTE_PGM_RSRC2:TIDIG_COMP_CNT: 0
	.section	.text._ZN9rocsparseL16sddmm_ell_kernelILi512ELi2E21rocsparse_complex_numIfEllS2_S2_S2_EEv20rocsparse_operation_S3_16rocsparse_order_S4_T3_S5_S5_T2_NS_24const_host_device_scalarIT1_EEPKT4_lPKT5_lS9_PT6_PKS5_21rocsparse_index_base_b,"axG",@progbits,_ZN9rocsparseL16sddmm_ell_kernelILi512ELi2E21rocsparse_complex_numIfEllS2_S2_S2_EEv20rocsparse_operation_S3_16rocsparse_order_S4_T3_S5_S5_T2_NS_24const_host_device_scalarIT1_EEPKT4_lPKT5_lS9_PT6_PKS5_21rocsparse_index_base_b,comdat
	.globl	_ZN9rocsparseL16sddmm_ell_kernelILi512ELi2E21rocsparse_complex_numIfEllS2_S2_S2_EEv20rocsparse_operation_S3_16rocsparse_order_S4_T3_S5_S5_T2_NS_24const_host_device_scalarIT1_EEPKT4_lPKT5_lS9_PT6_PKS5_21rocsparse_index_base_b ; -- Begin function _ZN9rocsparseL16sddmm_ell_kernelILi512ELi2E21rocsparse_complex_numIfEllS2_S2_S2_EEv20rocsparse_operation_S3_16rocsparse_order_S4_T3_S5_S5_T2_NS_24const_host_device_scalarIT1_EEPKT4_lPKT5_lS9_PT6_PKS5_21rocsparse_index_base_b
	.p2align	8
	.type	_ZN9rocsparseL16sddmm_ell_kernelILi512ELi2E21rocsparse_complex_numIfEllS2_S2_S2_EEv20rocsparse_operation_S3_16rocsparse_order_S4_T3_S5_S5_T2_NS_24const_host_device_scalarIT1_EEPKT4_lPKT5_lS9_PT6_PKS5_21rocsparse_index_base_b,@function
_ZN9rocsparseL16sddmm_ell_kernelILi512ELi2E21rocsparse_complex_numIfEllS2_S2_S2_EEv20rocsparse_operation_S3_16rocsparse_order_S4_T3_S5_S5_T2_NS_24const_host_device_scalarIT1_EEPKT4_lPKT5_lS9_PT6_PKS5_21rocsparse_index_base_b: ; @_ZN9rocsparseL16sddmm_ell_kernelILi512ELi2E21rocsparse_complex_numIfEllS2_S2_S2_EEv20rocsparse_operation_S3_16rocsparse_order_S4_T3_S5_S5_T2_NS_24const_host_device_scalarIT1_EEPKT4_lPKT5_lS9_PT6_PKS5_21rocsparse_index_base_b
; %bb.0:
	s_clause 0x1
	s_load_b64 s[12:13], s[0:1], 0x70
	s_load_b64 s[2:3], s[0:1], 0x30
	s_waitcnt lgkmcnt(0)
	s_bitcmp1_b32 s13, 0
	v_mov_b32_e32 v12, s2
	s_cselect_b32 s4, -1, 0
	s_delay_alu instid0(SALU_CYCLE_1)
	s_and_b32 vcc_lo, exec_lo, s4
	s_xor_b32 s4, s4, -1
	s_cbranch_vccnz .LBB52_2
; %bb.1:
	v_dual_mov_b32 v1, s2 :: v_dual_mov_b32 v2, s3
	flat_load_b32 v12, v[1:2]
.LBB52_2:
	s_load_b128 s[8:11], s[0:1], 0x50
	v_cndmask_b32_e64 v1, 0, 1, s4
	v_mov_b32_e32 v13, s3
	s_and_not1_b32 vcc_lo, exec_lo, s4
	s_cbranch_vccz .LBB52_19
; %bb.3:
	s_delay_alu instid0(VALU_DEP_2)
	v_cmp_ne_u32_e32 vcc_lo, 1, v1
	s_waitcnt lgkmcnt(0)
	v_mov_b32_e32 v14, s10
	s_cbranch_vccz .LBB52_20
.LBB52_4:
	v_cmp_ne_u32_e32 vcc_lo, 1, v1
	v_mov_b32_e32 v15, s11
	s_cbranch_vccnz .LBB52_6
.LBB52_5:
	v_dual_mov_b32 v1, s10 :: v_dual_mov_b32 v2, s11
	flat_load_b32 v15, v[1:2] offset:4
.LBB52_6:
	s_waitcnt vmcnt(0)
	v_or_b32_e32 v1, v12, v13
	s_mov_b32 s2, -1
	s_mov_b32 s3, exec_lo
	s_delay_alu instid0(VALU_DEP_1) | instskip(NEXT) | instid1(VALU_DEP_1)
	v_and_b32_e32 v1, 0x7fffffff, v1
	v_cmpx_eq_u32_e32 0, v1
	s_cbranch_execz .LBB52_8
; %bb.7:
	s_waitcnt lgkmcnt(0)
	v_cmp_neq_f32_e32 vcc_lo, 1.0, v14
	v_cmp_neq_f32_e64 s2, 0, v15
	s_delay_alu instid0(VALU_DEP_1) | instskip(NEXT) | instid1(SALU_CYCLE_1)
	s_or_b32 s2, vcc_lo, s2
	s_or_not1_b32 s2, s2, exec_lo
.LBB52_8:
	s_or_b32 exec_lo, exec_lo, s3
	s_and_saveexec_b32 s3, s2
	s_cbranch_execz .LBB52_41
; %bb.9:
	s_load_b128 s[4:7], s[0:1], 0x20
	v_lshrrev_b32_e32 v16, 1, v0
	v_mov_b32_e32 v2, 0
	s_delay_alu instid0(VALU_DEP_2) | instskip(SKIP_1) | instid1(VALU_DEP_1)
	v_lshl_or_b32 v1, s15, 8, v16
	s_waitcnt lgkmcnt(0)
	v_cmp_gt_i64_e32 vcc_lo, s[6:7], v[1:2]
	s_and_b32 exec_lo, exec_lo, vcc_lo
	s_cbranch_execz .LBB52_41
; %bb.10:
	s_clause 0x1
	s_load_b64 s[10:11], s[0:1], 0x10
	s_load_b64 s[6:7], s[0:1], 0x68
	s_mov_b32 s2, 0
                                        ; implicit-def: $vgpr7_vgpr8
	s_waitcnt lgkmcnt(0)
	s_mov_b32 s3, s11
	s_delay_alu instid0(SALU_CYCLE_1) | instskip(SKIP_1) | instid1(SALU_CYCLE_1)
	s_cmp_lg_u64 s[2:3], 0
	s_cselect_b32 s2, -1, 0
	s_and_saveexec_b32 s3, s2
	s_delay_alu instid0(SALU_CYCLE_1)
	s_xor_b32 s3, exec_lo, s3
	s_cbranch_execz .LBB52_12
; %bb.11:
	s_ashr_i32 s14, s11, 31
	s_delay_alu instid0(SALU_CYCLE_1) | instskip(SKIP_2) | instid1(SALU_CYCLE_1)
	s_add_u32 s16, s10, s14
	s_mov_b32 s15, s14
	s_addc_u32 s17, s11, s14
	s_xor_b64 s[14:15], s[16:17], s[14:15]
	s_delay_alu instid0(SALU_CYCLE_1) | instskip(SKIP_3) | instid1(VALU_DEP_1)
	v_cvt_f32_u32_e32 v3, s14
	v_cvt_f32_u32_e32 v4, s15
	s_sub_u32 s2, 0, s14
	s_subb_u32 s11, 0, s15
	v_fmamk_f32 v3, v4, 0x4f800000, v3
	s_delay_alu instid0(VALU_DEP_1) | instskip(SKIP_2) | instid1(VALU_DEP_1)
	v_rcp_f32_e32 v3, v3
	s_waitcnt_depctr 0xfff
	v_mul_f32_e32 v3, 0x5f7ffffc, v3
	v_mul_f32_e32 v4, 0x2f800000, v3
	s_delay_alu instid0(VALU_DEP_1) | instskip(NEXT) | instid1(VALU_DEP_1)
	v_trunc_f32_e32 v4, v4
	v_fmamk_f32 v3, v4, 0xcf800000, v3
	v_cvt_u32_f32_e32 v4, v4
	s_delay_alu instid0(VALU_DEP_2) | instskip(NEXT) | instid1(VALU_DEP_2)
	v_cvt_u32_f32_e32 v3, v3
	v_mul_lo_u32 v5, s2, v4
	s_delay_alu instid0(VALU_DEP_2) | instskip(SKIP_1) | instid1(VALU_DEP_2)
	v_mul_hi_u32 v6, s2, v3
	v_mul_lo_u32 v7, s11, v3
	v_add_nc_u32_e32 v5, v6, v5
	v_mul_lo_u32 v6, s2, v3
	s_delay_alu instid0(VALU_DEP_2) | instskip(NEXT) | instid1(VALU_DEP_2)
	v_add_nc_u32_e32 v5, v5, v7
	v_mul_hi_u32 v7, v3, v6
	s_delay_alu instid0(VALU_DEP_2)
	v_mul_lo_u32 v8, v3, v5
	v_mul_hi_u32 v9, v3, v5
	v_mul_hi_u32 v10, v4, v6
	v_mul_lo_u32 v6, v4, v6
	v_mul_hi_u32 v11, v4, v5
	v_mul_lo_u32 v5, v4, v5
	v_add_co_u32 v7, vcc_lo, v7, v8
	v_add_co_ci_u32_e32 v8, vcc_lo, 0, v9, vcc_lo
	s_delay_alu instid0(VALU_DEP_2) | instskip(NEXT) | instid1(VALU_DEP_2)
	v_add_co_u32 v6, vcc_lo, v7, v6
	v_add_co_ci_u32_e32 v6, vcc_lo, v8, v10, vcc_lo
	v_add_co_ci_u32_e32 v7, vcc_lo, 0, v11, vcc_lo
	s_delay_alu instid0(VALU_DEP_2) | instskip(NEXT) | instid1(VALU_DEP_2)
	v_add_co_u32 v5, vcc_lo, v6, v5
	v_add_co_ci_u32_e32 v6, vcc_lo, 0, v7, vcc_lo
	s_delay_alu instid0(VALU_DEP_2) | instskip(NEXT) | instid1(VALU_DEP_2)
	v_add_co_u32 v3, vcc_lo, v3, v5
	v_add_co_ci_u32_e32 v4, vcc_lo, v4, v6, vcc_lo
	s_delay_alu instid0(VALU_DEP_2) | instskip(SKIP_1) | instid1(VALU_DEP_3)
	v_mul_hi_u32 v5, s2, v3
	v_mul_lo_u32 v7, s11, v3
	v_mul_lo_u32 v6, s2, v4
	s_delay_alu instid0(VALU_DEP_1) | instskip(SKIP_1) | instid1(VALU_DEP_2)
	v_add_nc_u32_e32 v5, v5, v6
	v_mul_lo_u32 v6, s2, v3
	v_add_nc_u32_e32 v5, v5, v7
	s_delay_alu instid0(VALU_DEP_2) | instskip(NEXT) | instid1(VALU_DEP_2)
	v_mul_hi_u32 v7, v3, v6
	v_mul_lo_u32 v8, v3, v5
	v_mul_hi_u32 v9, v3, v5
	v_mul_hi_u32 v10, v4, v6
	v_mul_lo_u32 v6, v4, v6
	v_mul_hi_u32 v11, v4, v5
	v_mul_lo_u32 v5, v4, v5
	v_add_co_u32 v7, vcc_lo, v7, v8
	v_add_co_ci_u32_e32 v8, vcc_lo, 0, v9, vcc_lo
	s_delay_alu instid0(VALU_DEP_2) | instskip(NEXT) | instid1(VALU_DEP_2)
	v_add_co_u32 v6, vcc_lo, v7, v6
	v_add_co_ci_u32_e32 v6, vcc_lo, v8, v10, vcc_lo
	v_add_co_ci_u32_e32 v7, vcc_lo, 0, v11, vcc_lo
	s_delay_alu instid0(VALU_DEP_2) | instskip(NEXT) | instid1(VALU_DEP_2)
	v_add_co_u32 v5, vcc_lo, v6, v5
	v_add_co_ci_u32_e32 v6, vcc_lo, 0, v7, vcc_lo
	s_delay_alu instid0(VALU_DEP_2) | instskip(NEXT) | instid1(VALU_DEP_2)
	v_add_co_u32 v7, vcc_lo, v3, v5
	v_add_co_ci_u32_e32 v9, vcc_lo, v4, v6, vcc_lo
	s_delay_alu instid0(VALU_DEP_2) | instskip(SKIP_1) | instid1(VALU_DEP_3)
	v_mul_hi_u32 v10, v1, v7
	v_mad_u64_u32 v[5:6], null, 0, v7, 0
	v_mad_u64_u32 v[3:4], null, v1, v9, 0
	;; [unrolled: 1-line block ×3, first 2 shown]
	s_delay_alu instid0(VALU_DEP_2) | instskip(NEXT) | instid1(VALU_DEP_3)
	v_add_co_u32 v3, vcc_lo, v10, v3
	v_add_co_ci_u32_e32 v4, vcc_lo, 0, v4, vcc_lo
	s_delay_alu instid0(VALU_DEP_2) | instskip(NEXT) | instid1(VALU_DEP_2)
	v_add_co_u32 v3, vcc_lo, v3, v5
	v_add_co_ci_u32_e32 v3, vcc_lo, v4, v6, vcc_lo
	v_add_co_ci_u32_e32 v4, vcc_lo, 0, v8, vcc_lo
	s_delay_alu instid0(VALU_DEP_2) | instskip(NEXT) | instid1(VALU_DEP_2)
	v_add_co_u32 v5, vcc_lo, v3, v7
	v_add_co_ci_u32_e32 v6, vcc_lo, 0, v4, vcc_lo
	s_delay_alu instid0(VALU_DEP_2) | instskip(SKIP_1) | instid1(VALU_DEP_3)
	v_mul_lo_u32 v7, s15, v5
	v_mad_u64_u32 v[3:4], null, s14, v5, 0
	v_mul_lo_u32 v5, s14, v6
	s_delay_alu instid0(VALU_DEP_2) | instskip(NEXT) | instid1(VALU_DEP_2)
	v_sub_co_u32 v3, vcc_lo, v1, v3
	v_add3_u32 v4, v4, v5, v7
	s_delay_alu instid0(VALU_DEP_1) | instskip(NEXT) | instid1(VALU_DEP_1)
	v_sub_nc_u32_e32 v5, 0, v4
	v_subrev_co_ci_u32_e64 v5, s2, s15, v5, vcc_lo
	v_sub_co_ci_u32_e32 v4, vcc_lo, 0, v4, vcc_lo
	v_sub_co_u32 v6, vcc_lo, v3, s14
	s_delay_alu instid0(VALU_DEP_1) | instskip(SKIP_3) | instid1(VALU_DEP_3)
	v_subrev_co_ci_u32_e64 v7, s2, 0, v5, vcc_lo
	v_cmp_le_u32_e64 s2, s14, v3
	v_subrev_co_ci_u32_e32 v5, vcc_lo, s15, v5, vcc_lo
	v_cmp_le_u32_e32 vcc_lo, s15, v4
	v_cndmask_b32_e64 v8, 0, -1, s2
	v_cmp_le_u32_e64 s2, s14, v6
	v_cndmask_b32_e64 v11, 0, -1, vcc_lo
	v_cmp_eq_u32_e32 vcc_lo, s15, v7
	s_delay_alu instid0(VALU_DEP_3) | instskip(SKIP_1) | instid1(VALU_DEP_1)
	v_cndmask_b32_e64 v9, 0, -1, s2
	v_cmp_le_u32_e64 s2, s15, v7
	v_cndmask_b32_e64 v10, 0, -1, s2
	v_cmp_eq_u32_e64 s2, s15, v4
	s_delay_alu instid0(VALU_DEP_2) | instskip(SKIP_2) | instid1(VALU_DEP_3)
	v_cndmask_b32_e32 v9, v10, v9, vcc_lo
	v_sub_co_u32 v10, vcc_lo, v6, s14
	v_subrev_co_ci_u32_e32 v5, vcc_lo, 0, v5, vcc_lo
	v_cmp_ne_u32_e32 vcc_lo, 0, v9
	v_cndmask_b32_e64 v8, v11, v8, s2
	s_delay_alu instid0(VALU_DEP_3) | instskip(NEXT) | instid1(VALU_DEP_2)
	v_dual_cndmask_b32 v5, v7, v5 :: v_dual_cndmask_b32 v6, v6, v10
	v_cmp_ne_u32_e32 vcc_lo, 0, v8
	s_delay_alu instid0(VALU_DEP_2) | instskip(NEXT) | instid1(VALU_DEP_1)
	v_dual_cndmask_b32 v3, v3, v6 :: v_dual_cndmask_b32 v4, v4, v5
	v_sub_co_u32 v7, vcc_lo, v3, 0
	s_delay_alu instid0(VALU_DEP_2)
	v_subrev_co_ci_u32_e32 v8, vcc_lo, 0, v4, vcc_lo
.LBB52_12:
	s_and_not1_saveexec_b32 s2, s3
	s_cbranch_execz .LBB52_14
; %bb.13:
	v_cvt_f32_u32_e32 v3, s10
	s_sub_i32 s3, 0, s10
	v_mov_b32_e32 v8, 0
	s_delay_alu instid0(VALU_DEP_2) | instskip(SKIP_2) | instid1(VALU_DEP_1)
	v_rcp_iflag_f32_e32 v3, v3
	s_waitcnt_depctr 0xfff
	v_mul_f32_e32 v3, 0x4f7ffffe, v3
	v_cvt_u32_f32_e32 v3, v3
	s_delay_alu instid0(VALU_DEP_1) | instskip(NEXT) | instid1(VALU_DEP_1)
	v_mul_lo_u32 v4, s3, v3
	v_mul_hi_u32 v4, v3, v4
	s_delay_alu instid0(VALU_DEP_1) | instskip(NEXT) | instid1(VALU_DEP_1)
	v_add_nc_u32_e32 v3, v3, v4
	v_mul_hi_u32 v3, v1, v3
	s_delay_alu instid0(VALU_DEP_1) | instskip(NEXT) | instid1(VALU_DEP_1)
	v_mul_lo_u32 v3, v3, s10
	v_sub_nc_u32_e32 v3, v1, v3
	s_delay_alu instid0(VALU_DEP_1) | instskip(SKIP_1) | instid1(VALU_DEP_2)
	v_subrev_nc_u32_e32 v4, s10, v3
	v_cmp_le_u32_e32 vcc_lo, s10, v3
	v_cndmask_b32_e32 v3, v3, v4, vcc_lo
	s_delay_alu instid0(VALU_DEP_1) | instskip(SKIP_1) | instid1(VALU_DEP_2)
	v_subrev_nc_u32_e32 v4, s10, v3
	v_cmp_le_u32_e32 vcc_lo, s10, v3
	v_cndmask_b32_e32 v7, v3, v4, vcc_lo
.LBB52_14:
	s_or_b32 exec_lo, exec_lo, s2
	v_lshlrev_b64 v[1:2], 3, v[1:2]
	s_delay_alu instid0(VALU_DEP_1) | instskip(NEXT) | instid1(VALU_DEP_2)
	v_add_co_u32 v3, vcc_lo, s6, v1
	v_add_co_ci_u32_e32 v4, vcc_lo, s7, v2, vcc_lo
	global_load_b64 v[3:4], v[3:4], off
	s_waitcnt vmcnt(0)
	v_sub_co_u32 v5, vcc_lo, v3, s12
	v_subrev_co_ci_u32_e32 v6, vcc_lo, 0, v4, vcc_lo
	s_delay_alu instid0(VALU_DEP_1)
	v_cmp_lt_i64_e32 vcc_lo, -1, v[5:6]
	s_and_b32 exec_lo, exec_lo, vcc_lo
	s_cbranch_execz .LBB52_41
; %bb.15:
	s_clause 0x1
	s_load_b128 s[12:15], s[0:1], 0x0
	s_load_b64 s[6:7], s[0:1], 0x40
	s_waitcnt lgkmcnt(0)
	s_cmp_eq_u32 s14, 1
	s_cselect_b32 s10, -1, 0
	s_cmpk_eq_i32 s12, 0x6f
	s_cselect_b32 s11, -1, 0
	s_cmpk_lg_i32 s12, 0x6f
	s_cselect_b32 s2, -1, 0
	s_cmp_lg_u32 s14, 1
	s_cbranch_scc0 .LBB52_21
; %bb.16:
	v_dual_mov_b32 v3, v7 :: v_dual_mov_b32 v4, v8
	s_and_not1_b32 vcc_lo, exec_lo, s11
	s_cbranch_vccnz .LBB52_18
; %bb.17:
	v_mul_lo_u32 v9, v8, s6
	v_mul_lo_u32 v10, v7, s7
	v_mad_u64_u32 v[3:4], null, v7, s6, 0
	s_delay_alu instid0(VALU_DEP_1)
	v_add3_u32 v4, v4, v10, v9
.LBB52_18:
	s_cbranch_execz .LBB52_22
	s_branch .LBB52_25
.LBB52_19:
	v_dual_mov_b32 v2, s2 :: v_dual_mov_b32 v3, s3
	flat_load_b32 v13, v[2:3] offset:4
	v_cmp_ne_u32_e32 vcc_lo, 1, v1
	s_waitcnt lgkmcnt(0)
	v_mov_b32_e32 v14, s10
	s_cbranch_vccnz .LBB52_4
.LBB52_20:
	v_dual_mov_b32 v2, s10 :: v_dual_mov_b32 v3, s11
	flat_load_b32 v14, v[2:3]
	v_cmp_ne_u32_e32 vcc_lo, 1, v1
	v_mov_b32_e32 v15, s11
	s_cbranch_vccz .LBB52_5
	s_branch .LBB52_6
.LBB52_21:
                                        ; implicit-def: $vgpr3_vgpr4
.LBB52_22:
	s_and_not1_b32 vcc_lo, exec_lo, s2
	s_cbranch_vccnz .LBB52_24
; %bb.23:
	v_mul_lo_u32 v8, v8, s6
	v_mul_lo_u32 v9, v7, s7
	v_mad_u64_u32 v[3:4], null, v7, s6, 0
	s_delay_alu instid0(VALU_DEP_1) | instskip(NEXT) | instid1(VALU_DEP_1)
	v_add3_u32 v4, v4, v9, v8
	v_dual_mov_b32 v8, v4 :: v_dual_mov_b32 v7, v3
.LBB52_24:
	s_delay_alu instid0(VALU_DEP_1)
	v_dual_mov_b32 v3, v7 :: v_dual_mov_b32 v4, v8
.LBB52_25:
	s_cmp_eq_u32 s15, 1
	s_cselect_b32 s14, -1, 0
	s_cmpk_eq_i32 s13, 0x6f
	s_cselect_b32 s16, -1, 0
	s_cmpk_lg_i32 s13, 0x6f
	s_cselect_b32 s2, -1, 0
	s_cmp_lg_u32 s15, 1
	s_cbranch_scc0 .LBB52_29
; %bb.26:
	v_dual_mov_b32 v9, v6 :: v_dual_mov_b32 v8, v5
	s_and_not1_b32 vcc_lo, exec_lo, s2
	s_cbranch_vccnz .LBB52_28
; %bb.27:
	v_mul_lo_u32 v7, v6, s8
	v_mul_lo_u32 v10, v5, s9
	v_mad_u64_u32 v[8:9], null, v5, s8, 0
	s_delay_alu instid0(VALU_DEP_1)
	v_add3_u32 v9, v9, v10, v7
.LBB52_28:
	s_cbranch_execz .LBB52_30
	s_branch .LBB52_33
.LBB52_29:
                                        ; implicit-def: $vgpr8_vgpr9
.LBB52_30:
	s_and_not1_b32 vcc_lo, exec_lo, s16
	s_cbranch_vccnz .LBB52_32
; %bb.31:
	v_mul_lo_u32 v8, v6, s8
	v_mul_lo_u32 v9, v5, s9
	v_mad_u64_u32 v[6:7], null, v5, s8, 0
	s_delay_alu instid0(VALU_DEP_1) | instskip(NEXT) | instid1(VALU_DEP_2)
	v_add3_u32 v7, v7, v9, v8
	v_mov_b32_e32 v5, v6
	s_delay_alu instid0(VALU_DEP_2)
	v_mov_b32_e32 v6, v7
.LBB52_32:
	s_delay_alu instid0(VALU_DEP_1)
	v_dual_mov_b32 v9, v6 :: v_dual_mov_b32 v8, v5
.LBB52_33:
	s_load_b64 s[2:3], s[0:1], 0x60
	v_dual_mov_b32 v6, 0 :: v_dual_and_b32 v5, 1, v0
	s_mov_b32 s13, 0
	s_mov_b32 s12, exec_lo
	s_delay_alu instid0(VALU_DEP_1) | instskip(NEXT) | instid1(VALU_DEP_2)
	v_mov_b32_e32 v7, v6
	v_cmpx_gt_i64_e64 s[4:5], v[5:6]
	s_cbranch_execz .LBB52_37
; %bb.34:
	s_xor_b32 s10, s11, s10
	v_lshlrev_b64 v[7:8], 3, v[8:9]
	s_and_b32 s10, s10, exec_lo
	s_cselect_b32 s11, 0, s7
	s_cselect_b32 s10, 1, s6
	s_xor_b32 s14, s16, s14
	s_load_b64 s[6:7], s[0:1], 0x48
	s_and_b32 s14, s14, exec_lo
	s_cselect_b32 s9, s9, 0
	s_cselect_b32 s8, s8, 1
	v_mul_lo_u32 v11, s9, v5
	v_mul_lo_u32 v10, s8, v5
	s_load_b64 s[0:1], s[0:1], 0x38
	v_mul_lo_u32 v18, s11, v5
	v_mul_lo_u32 v17, s10, v5
	s_delay_alu instid0(VALU_DEP_3) | instskip(NEXT) | instid1(VALU_DEP_1)
	v_lshlrev_b64 v[9:10], 3, v[10:11]
	v_add_co_u32 v0, vcc_lo, v9, v7
	s_delay_alu instid0(VALU_DEP_2) | instskip(SKIP_2) | instid1(VALU_DEP_3)
	v_add_co_ci_u32_e32 v9, vcc_lo, v10, v8, vcc_lo
	v_lshlrev_b64 v[7:8], 3, v[3:4]
	s_waitcnt lgkmcnt(0)
	v_add_co_u32 v0, vcc_lo, v0, s6
	s_delay_alu instid0(VALU_DEP_3) | instskip(SKIP_1) | instid1(VALU_DEP_3)
	v_add_co_ci_u32_e32 v4, vcc_lo, s7, v9, vcc_lo
	v_lshlrev_b64 v[9:10], 3, v[17:18]
	v_add_co_u32 v3, vcc_lo, v0, 4
	s_delay_alu instid0(VALU_DEP_3) | instskip(SKIP_1) | instid1(VALU_DEP_3)
	v_add_co_ci_u32_e32 v4, vcc_lo, 0, v4, vcc_lo
	s_lshl_b64 s[6:7], s[8:9], 4
	v_add_co_u32 v0, vcc_lo, v9, v7
	s_delay_alu instid0(VALU_DEP_4) | instskip(SKIP_1) | instid1(VALU_DEP_3)
	v_add_co_ci_u32_e32 v9, vcc_lo, v10, v8, vcc_lo
	v_mov_b32_e32 v7, 0
	v_add_co_u32 v8, vcc_lo, s0, v0
	v_mov_b32_e32 v11, v6
	s_delay_alu instid0(VALU_DEP_4)
	v_add_co_ci_u32_e32 v9, vcc_lo, s1, v9, vcc_lo
	v_mov_b32_e32 v10, v5
	v_mov_b32_e32 v6, v7
	s_lshl_b64 s[8:9], s[10:11], 4
	.p2align	6
.LBB52_35:                              ; =>This Inner Loop Header: Depth=1
	global_load_b64 v[17:18], v[8:9], off
	global_load_b64 v[19:20], v[3:4], off offset:-4
	v_add_co_u32 v10, vcc_lo, v10, 2
	v_add_co_ci_u32_e32 v11, vcc_lo, 0, v11, vcc_lo
	v_add_co_u32 v3, vcc_lo, v3, s6
	v_add_co_ci_u32_e32 v4, vcc_lo, s7, v4, vcc_lo
	s_delay_alu instid0(VALU_DEP_3) | instskip(SKIP_2) | instid1(VALU_DEP_3)
	v_cmp_le_i64_e64 s0, s[4:5], v[10:11]
	v_add_co_u32 v8, vcc_lo, v8, s8
	v_add_co_ci_u32_e32 v9, vcc_lo, s9, v9, vcc_lo
	s_or_b32 s13, s0, s13
	s_waitcnt vmcnt(0)
	v_mul_f32_e64 v0, v20, -v18
	s_delay_alu instid0(VALU_DEP_1) | instskip(NEXT) | instid1(VALU_DEP_1)
	v_fmac_f32_e32 v0, v17, v19
	v_dual_mul_f32 v20, v20, v17 :: v_dual_add_f32 v7, v7, v0
	s_delay_alu instid0(VALU_DEP_1) | instskip(NEXT) | instid1(VALU_DEP_1)
	v_fmac_f32_e32 v20, v18, v19
	v_add_f32_e32 v6, v6, v20
	s_and_not1_b32 exec_lo, exec_lo, s13
	s_cbranch_execnz .LBB52_35
; %bb.36:
	s_or_b32 exec_lo, exec_lo, s13
.LBB52_37:
	s_delay_alu instid0(SALU_CYCLE_1) | instskip(SKIP_3) | instid1(VALU_DEP_3)
	s_or_b32 exec_lo, exec_lo, s12
	v_lshlrev_b32_e32 v0, 4, v16
	v_mov_b32_e32 v8, v6
	v_cmp_eq_u32_e32 vcc_lo, 0, v5
	v_lshl_or_b32 v3, v5, 3, v0
	ds_store_b64 v3, v[7:8]
	s_waitcnt lgkmcnt(0)
	s_barrier
	buffer_gl0_inv
	s_and_saveexec_b32 s0, vcc_lo
	s_cbranch_execz .LBB52_39
; %bb.38:
	ds_load_b64 v[4:5], v0 offset:8
	ds_load_b64 v[6:7], v3
	s_waitcnt lgkmcnt(0)
	v_dual_add_f32 v4, v4, v6 :: v_dual_add_f32 v5, v5, v7
	ds_store_b64 v3, v[4:5]
.LBB52_39:
	s_or_b32 exec_lo, exec_lo, s0
	s_waitcnt lgkmcnt(0)
	s_barrier
	buffer_gl0_inv
	s_and_b32 exec_lo, exec_lo, vcc_lo
	s_cbranch_execz .LBB52_41
; %bb.40:
	v_add_co_u32 v1, vcc_lo, s2, v1
	v_add_co_ci_u32_e32 v2, vcc_lo, s3, v2, vcc_lo
	ds_load_b64 v[5:6], v0
	global_load_b64 v[3:4], v[1:2], off
	s_waitcnt lgkmcnt(0)
	v_mul_f32_e64 v0, v6, -v13
	s_delay_alu instid0(VALU_DEP_1) | instskip(SKIP_4) | instid1(VALU_DEP_2)
	v_fmac_f32_e32 v0, v12, v5
	s_waitcnt vmcnt(0)
	v_mul_f32_e64 v7, v15, -v4
	v_mul_f32_e32 v6, v6, v12
	v_mul_f32_e32 v8, v15, v3
	v_dual_fmac_f32 v7, v3, v14 :: v_dual_fmac_f32 v6, v13, v5
	s_delay_alu instid0(VALU_DEP_2) | instskip(NEXT) | instid1(VALU_DEP_2)
	v_fmac_f32_e32 v8, v4, v14
	v_add_f32_e32 v3, v0, v7
	s_delay_alu instid0(VALU_DEP_2)
	v_add_f32_e32 v4, v8, v6
	global_store_b64 v[1:2], v[3:4], off
.LBB52_41:
	s_nop 0
	s_sendmsg sendmsg(MSG_DEALLOC_VGPRS)
	s_endpgm
	.section	.rodata,"a",@progbits
	.p2align	6, 0x0
	.amdhsa_kernel _ZN9rocsparseL16sddmm_ell_kernelILi512ELi2E21rocsparse_complex_numIfEllS2_S2_S2_EEv20rocsparse_operation_S3_16rocsparse_order_S4_T3_S5_S5_T2_NS_24const_host_device_scalarIT1_EEPKT4_lPKT5_lS9_PT6_PKS5_21rocsparse_index_base_b
		.amdhsa_group_segment_fixed_size 4096
		.amdhsa_private_segment_fixed_size 0
		.amdhsa_kernarg_size 120
		.amdhsa_user_sgpr_count 15
		.amdhsa_user_sgpr_dispatch_ptr 0
		.amdhsa_user_sgpr_queue_ptr 0
		.amdhsa_user_sgpr_kernarg_segment_ptr 1
		.amdhsa_user_sgpr_dispatch_id 0
		.amdhsa_user_sgpr_private_segment_size 0
		.amdhsa_wavefront_size32 1
		.amdhsa_uses_dynamic_stack 0
		.amdhsa_enable_private_segment 0
		.amdhsa_system_sgpr_workgroup_id_x 1
		.amdhsa_system_sgpr_workgroup_id_y 0
		.amdhsa_system_sgpr_workgroup_id_z 0
		.amdhsa_system_sgpr_workgroup_info 0
		.amdhsa_system_vgpr_workitem_id 0
		.amdhsa_next_free_vgpr 21
		.amdhsa_next_free_sgpr 18
		.amdhsa_reserve_vcc 1
		.amdhsa_float_round_mode_32 0
		.amdhsa_float_round_mode_16_64 0
		.amdhsa_float_denorm_mode_32 3
		.amdhsa_float_denorm_mode_16_64 3
		.amdhsa_dx10_clamp 1
		.amdhsa_ieee_mode 1
		.amdhsa_fp16_overflow 0
		.amdhsa_workgroup_processor_mode 1
		.amdhsa_memory_ordered 1
		.amdhsa_forward_progress 0
		.amdhsa_shared_vgpr_count 0
		.amdhsa_exception_fp_ieee_invalid_op 0
		.amdhsa_exception_fp_denorm_src 0
		.amdhsa_exception_fp_ieee_div_zero 0
		.amdhsa_exception_fp_ieee_overflow 0
		.amdhsa_exception_fp_ieee_underflow 0
		.amdhsa_exception_fp_ieee_inexact 0
		.amdhsa_exception_int_div_zero 0
	.end_amdhsa_kernel
	.section	.text._ZN9rocsparseL16sddmm_ell_kernelILi512ELi2E21rocsparse_complex_numIfEllS2_S2_S2_EEv20rocsparse_operation_S3_16rocsparse_order_S4_T3_S5_S5_T2_NS_24const_host_device_scalarIT1_EEPKT4_lPKT5_lS9_PT6_PKS5_21rocsparse_index_base_b,"axG",@progbits,_ZN9rocsparseL16sddmm_ell_kernelILi512ELi2E21rocsparse_complex_numIfEllS2_S2_S2_EEv20rocsparse_operation_S3_16rocsparse_order_S4_T3_S5_S5_T2_NS_24const_host_device_scalarIT1_EEPKT4_lPKT5_lS9_PT6_PKS5_21rocsparse_index_base_b,comdat
.Lfunc_end52:
	.size	_ZN9rocsparseL16sddmm_ell_kernelILi512ELi2E21rocsparse_complex_numIfEllS2_S2_S2_EEv20rocsparse_operation_S3_16rocsparse_order_S4_T3_S5_S5_T2_NS_24const_host_device_scalarIT1_EEPKT4_lPKT5_lS9_PT6_PKS5_21rocsparse_index_base_b, .Lfunc_end52-_ZN9rocsparseL16sddmm_ell_kernelILi512ELi2E21rocsparse_complex_numIfEllS2_S2_S2_EEv20rocsparse_operation_S3_16rocsparse_order_S4_T3_S5_S5_T2_NS_24const_host_device_scalarIT1_EEPKT4_lPKT5_lS9_PT6_PKS5_21rocsparse_index_base_b
                                        ; -- End function
	.section	.AMDGPU.csdata,"",@progbits
; Kernel info:
; codeLenInByte = 2336
; NumSgprs: 20
; NumVgprs: 21
; ScratchSize: 0
; MemoryBound: 0
; FloatMode: 240
; IeeeMode: 1
; LDSByteSize: 4096 bytes/workgroup (compile time only)
; SGPRBlocks: 2
; VGPRBlocks: 2
; NumSGPRsForWavesPerEU: 20
; NumVGPRsForWavesPerEU: 21
; Occupancy: 16
; WaveLimiterHint : 0
; COMPUTE_PGM_RSRC2:SCRATCH_EN: 0
; COMPUTE_PGM_RSRC2:USER_SGPR: 15
; COMPUTE_PGM_RSRC2:TRAP_HANDLER: 0
; COMPUTE_PGM_RSRC2:TGID_X_EN: 1
; COMPUTE_PGM_RSRC2:TGID_Y_EN: 0
; COMPUTE_PGM_RSRC2:TGID_Z_EN: 0
; COMPUTE_PGM_RSRC2:TIDIG_COMP_CNT: 0
	.section	.text._ZN9rocsparseL16sddmm_ell_kernelILi512ELi1E21rocsparse_complex_numIfEllS2_S2_S2_EEv20rocsparse_operation_S3_16rocsparse_order_S4_T3_S5_S5_T2_NS_24const_host_device_scalarIT1_EEPKT4_lPKT5_lS9_PT6_PKS5_21rocsparse_index_base_b,"axG",@progbits,_ZN9rocsparseL16sddmm_ell_kernelILi512ELi1E21rocsparse_complex_numIfEllS2_S2_S2_EEv20rocsparse_operation_S3_16rocsparse_order_S4_T3_S5_S5_T2_NS_24const_host_device_scalarIT1_EEPKT4_lPKT5_lS9_PT6_PKS5_21rocsparse_index_base_b,comdat
	.globl	_ZN9rocsparseL16sddmm_ell_kernelILi512ELi1E21rocsparse_complex_numIfEllS2_S2_S2_EEv20rocsparse_operation_S3_16rocsparse_order_S4_T3_S5_S5_T2_NS_24const_host_device_scalarIT1_EEPKT4_lPKT5_lS9_PT6_PKS5_21rocsparse_index_base_b ; -- Begin function _ZN9rocsparseL16sddmm_ell_kernelILi512ELi1E21rocsparse_complex_numIfEllS2_S2_S2_EEv20rocsparse_operation_S3_16rocsparse_order_S4_T3_S5_S5_T2_NS_24const_host_device_scalarIT1_EEPKT4_lPKT5_lS9_PT6_PKS5_21rocsparse_index_base_b
	.p2align	8
	.type	_ZN9rocsparseL16sddmm_ell_kernelILi512ELi1E21rocsparse_complex_numIfEllS2_S2_S2_EEv20rocsparse_operation_S3_16rocsparse_order_S4_T3_S5_S5_T2_NS_24const_host_device_scalarIT1_EEPKT4_lPKT5_lS9_PT6_PKS5_21rocsparse_index_base_b,@function
_ZN9rocsparseL16sddmm_ell_kernelILi512ELi1E21rocsparse_complex_numIfEllS2_S2_S2_EEv20rocsparse_operation_S3_16rocsparse_order_S4_T3_S5_S5_T2_NS_24const_host_device_scalarIT1_EEPKT4_lPKT5_lS9_PT6_PKS5_21rocsparse_index_base_b: ; @_ZN9rocsparseL16sddmm_ell_kernelILi512ELi1E21rocsparse_complex_numIfEllS2_S2_S2_EEv20rocsparse_operation_S3_16rocsparse_order_S4_T3_S5_S5_T2_NS_24const_host_device_scalarIT1_EEPKT4_lPKT5_lS9_PT6_PKS5_21rocsparse_index_base_b
; %bb.0:
	s_clause 0x1
	s_load_b64 s[12:13], s[0:1], 0x70
	s_load_b64 s[2:3], s[0:1], 0x30
	s_waitcnt lgkmcnt(0)
	s_bitcmp1_b32 s13, 0
	v_mov_b32_e32 v9, s2
	s_cselect_b32 s4, -1, 0
	s_delay_alu instid0(SALU_CYCLE_1)
	s_and_b32 vcc_lo, exec_lo, s4
	s_xor_b32 s8, s4, -1
	s_cbranch_vccnz .LBB53_2
; %bb.1:
	v_dual_mov_b32 v1, s2 :: v_dual_mov_b32 v2, s3
	flat_load_b32 v9, v[1:2]
.LBB53_2:
	s_load_b128 s[4:7], s[0:1], 0x50
	v_cndmask_b32_e64 v1, 0, 1, s8
	v_mov_b32_e32 v10, s3
	s_and_not1_b32 vcc_lo, exec_lo, s8
	s_cbranch_vccz .LBB53_19
; %bb.3:
	s_delay_alu instid0(VALU_DEP_2)
	v_cmp_ne_u32_e32 vcc_lo, 1, v1
	s_waitcnt lgkmcnt(0)
	v_mov_b32_e32 v11, s6
	s_cbranch_vccz .LBB53_20
.LBB53_4:
	v_cmp_ne_u32_e32 vcc_lo, 1, v1
	v_mov_b32_e32 v12, s7
	s_cbranch_vccnz .LBB53_6
.LBB53_5:
	v_dual_mov_b32 v1, s6 :: v_dual_mov_b32 v2, s7
	flat_load_b32 v12, v[1:2] offset:4
.LBB53_6:
	s_waitcnt vmcnt(0)
	v_or_b32_e32 v1, v9, v10
	s_mov_b32 s2, -1
	s_mov_b32 s3, exec_lo
	s_delay_alu instid0(VALU_DEP_1) | instskip(NEXT) | instid1(VALU_DEP_1)
	v_and_b32_e32 v1, 0x7fffffff, v1
	v_cmpx_eq_u32_e32 0, v1
	s_cbranch_execz .LBB53_8
; %bb.7:
	s_waitcnt lgkmcnt(0)
	v_cmp_neq_f32_e32 vcc_lo, 1.0, v11
	v_cmp_neq_f32_e64 s2, 0, v12
	s_delay_alu instid0(VALU_DEP_1) | instskip(NEXT) | instid1(SALU_CYCLE_1)
	s_or_b32 s2, vcc_lo, s2
	s_or_not1_b32 s2, s2, exec_lo
.LBB53_8:
	s_or_b32 exec_lo, exec_lo, s3
	s_and_saveexec_b32 s3, s2
	s_cbranch_execz .LBB53_37
; %bb.9:
	s_load_b128 s[8:11], s[0:1], 0x20
	v_lshl_or_b32 v1, s15, 9, v0
	v_mov_b32_e32 v2, 0
	s_waitcnt lgkmcnt(0)
	s_delay_alu instid0(VALU_DEP_1)
	v_cmp_gt_i64_e32 vcc_lo, s[10:11], v[1:2]
	s_and_b32 exec_lo, exec_lo, vcc_lo
	s_cbranch_execz .LBB53_37
; %bb.10:
	s_clause 0x1
	s_load_b64 s[10:11], s[0:1], 0x10
	s_load_b64 s[6:7], s[0:1], 0x68
	s_mov_b32 s2, 0
                                        ; implicit-def: $vgpr7_vgpr8
	s_waitcnt lgkmcnt(0)
	s_mov_b32 s3, s11
	s_delay_alu instid0(SALU_CYCLE_1) | instskip(SKIP_1) | instid1(SALU_CYCLE_1)
	s_cmp_lg_u64 s[2:3], 0
	s_cselect_b32 s2, -1, 0
	s_and_saveexec_b32 s3, s2
	s_delay_alu instid0(SALU_CYCLE_1)
	s_xor_b32 s3, exec_lo, s3
	s_cbranch_execz .LBB53_12
; %bb.11:
	s_ashr_i32 s14, s11, 31
	s_delay_alu instid0(SALU_CYCLE_1) | instskip(SKIP_2) | instid1(SALU_CYCLE_1)
	s_add_u32 s16, s10, s14
	s_mov_b32 s15, s14
	s_addc_u32 s17, s11, s14
	s_xor_b64 s[14:15], s[16:17], s[14:15]
	s_delay_alu instid0(SALU_CYCLE_1) | instskip(SKIP_3) | instid1(VALU_DEP_1)
	v_cvt_f32_u32_e32 v3, s14
	v_cvt_f32_u32_e32 v4, s15
	s_sub_u32 s2, 0, s14
	s_subb_u32 s11, 0, s15
	v_fmamk_f32 v3, v4, 0x4f800000, v3
	s_delay_alu instid0(VALU_DEP_1) | instskip(SKIP_2) | instid1(VALU_DEP_1)
	v_rcp_f32_e32 v3, v3
	s_waitcnt_depctr 0xfff
	v_mul_f32_e32 v3, 0x5f7ffffc, v3
	v_mul_f32_e32 v4, 0x2f800000, v3
	s_delay_alu instid0(VALU_DEP_1) | instskip(NEXT) | instid1(VALU_DEP_1)
	v_trunc_f32_e32 v4, v4
	v_fmamk_f32 v3, v4, 0xcf800000, v3
	v_cvt_u32_f32_e32 v4, v4
	s_delay_alu instid0(VALU_DEP_2) | instskip(NEXT) | instid1(VALU_DEP_2)
	v_cvt_u32_f32_e32 v3, v3
	v_mul_lo_u32 v5, s2, v4
	s_delay_alu instid0(VALU_DEP_2) | instskip(SKIP_1) | instid1(VALU_DEP_2)
	v_mul_hi_u32 v6, s2, v3
	v_mul_lo_u32 v7, s11, v3
	v_add_nc_u32_e32 v5, v6, v5
	v_mul_lo_u32 v6, s2, v3
	s_delay_alu instid0(VALU_DEP_2) | instskip(NEXT) | instid1(VALU_DEP_2)
	v_add_nc_u32_e32 v5, v5, v7
	v_mul_hi_u32 v7, v3, v6
	s_delay_alu instid0(VALU_DEP_2)
	v_mul_lo_u32 v8, v3, v5
	v_mul_hi_u32 v13, v3, v5
	v_mul_hi_u32 v14, v4, v6
	v_mul_lo_u32 v6, v4, v6
	v_mul_hi_u32 v15, v4, v5
	v_mul_lo_u32 v5, v4, v5
	v_add_co_u32 v7, vcc_lo, v7, v8
	v_add_co_ci_u32_e32 v8, vcc_lo, 0, v13, vcc_lo
	s_delay_alu instid0(VALU_DEP_2) | instskip(NEXT) | instid1(VALU_DEP_2)
	v_add_co_u32 v6, vcc_lo, v7, v6
	v_add_co_ci_u32_e32 v6, vcc_lo, v8, v14, vcc_lo
	v_add_co_ci_u32_e32 v7, vcc_lo, 0, v15, vcc_lo
	s_delay_alu instid0(VALU_DEP_2) | instskip(NEXT) | instid1(VALU_DEP_2)
	v_add_co_u32 v5, vcc_lo, v6, v5
	v_add_co_ci_u32_e32 v6, vcc_lo, 0, v7, vcc_lo
	s_delay_alu instid0(VALU_DEP_2) | instskip(NEXT) | instid1(VALU_DEP_2)
	v_add_co_u32 v3, vcc_lo, v3, v5
	v_add_co_ci_u32_e32 v4, vcc_lo, v4, v6, vcc_lo
	s_delay_alu instid0(VALU_DEP_2) | instskip(SKIP_1) | instid1(VALU_DEP_3)
	v_mul_hi_u32 v5, s2, v3
	v_mul_lo_u32 v7, s11, v3
	v_mul_lo_u32 v6, s2, v4
	s_delay_alu instid0(VALU_DEP_1) | instskip(SKIP_1) | instid1(VALU_DEP_2)
	v_add_nc_u32_e32 v5, v5, v6
	v_mul_lo_u32 v6, s2, v3
	v_add_nc_u32_e32 v5, v5, v7
	s_delay_alu instid0(VALU_DEP_2) | instskip(NEXT) | instid1(VALU_DEP_2)
	v_mul_hi_u32 v7, v3, v6
	v_mul_lo_u32 v8, v3, v5
	v_mul_hi_u32 v13, v3, v5
	v_mul_hi_u32 v14, v4, v6
	v_mul_lo_u32 v6, v4, v6
	v_mul_hi_u32 v15, v4, v5
	v_mul_lo_u32 v5, v4, v5
	v_add_co_u32 v7, vcc_lo, v7, v8
	v_add_co_ci_u32_e32 v8, vcc_lo, 0, v13, vcc_lo
	s_delay_alu instid0(VALU_DEP_2) | instskip(NEXT) | instid1(VALU_DEP_2)
	v_add_co_u32 v6, vcc_lo, v7, v6
	v_add_co_ci_u32_e32 v6, vcc_lo, v8, v14, vcc_lo
	v_add_co_ci_u32_e32 v7, vcc_lo, 0, v15, vcc_lo
	s_delay_alu instid0(VALU_DEP_2) | instskip(NEXT) | instid1(VALU_DEP_2)
	v_add_co_u32 v5, vcc_lo, v6, v5
	v_add_co_ci_u32_e32 v6, vcc_lo, 0, v7, vcc_lo
	s_delay_alu instid0(VALU_DEP_2) | instskip(NEXT) | instid1(VALU_DEP_2)
	v_add_co_u32 v7, vcc_lo, v3, v5
	v_add_co_ci_u32_e32 v13, vcc_lo, v4, v6, vcc_lo
	s_delay_alu instid0(VALU_DEP_2) | instskip(SKIP_1) | instid1(VALU_DEP_3)
	v_mul_hi_u32 v14, v1, v7
	v_mad_u64_u32 v[5:6], null, 0, v7, 0
	v_mad_u64_u32 v[3:4], null, v1, v13, 0
	;; [unrolled: 1-line block ×3, first 2 shown]
	s_delay_alu instid0(VALU_DEP_2) | instskip(NEXT) | instid1(VALU_DEP_3)
	v_add_co_u32 v3, vcc_lo, v14, v3
	v_add_co_ci_u32_e32 v4, vcc_lo, 0, v4, vcc_lo
	s_delay_alu instid0(VALU_DEP_2) | instskip(NEXT) | instid1(VALU_DEP_2)
	v_add_co_u32 v3, vcc_lo, v3, v5
	v_add_co_ci_u32_e32 v3, vcc_lo, v4, v6, vcc_lo
	v_add_co_ci_u32_e32 v4, vcc_lo, 0, v8, vcc_lo
	s_delay_alu instid0(VALU_DEP_2) | instskip(NEXT) | instid1(VALU_DEP_2)
	v_add_co_u32 v5, vcc_lo, v3, v7
	v_add_co_ci_u32_e32 v6, vcc_lo, 0, v4, vcc_lo
	s_delay_alu instid0(VALU_DEP_2) | instskip(SKIP_1) | instid1(VALU_DEP_3)
	v_mul_lo_u32 v7, s15, v5
	v_mad_u64_u32 v[3:4], null, s14, v5, 0
	v_mul_lo_u32 v5, s14, v6
	s_delay_alu instid0(VALU_DEP_2) | instskip(NEXT) | instid1(VALU_DEP_2)
	v_sub_co_u32 v3, vcc_lo, v1, v3
	v_add3_u32 v4, v4, v5, v7
	s_delay_alu instid0(VALU_DEP_1) | instskip(NEXT) | instid1(VALU_DEP_1)
	v_sub_nc_u32_e32 v5, 0, v4
	v_subrev_co_ci_u32_e64 v5, s2, s15, v5, vcc_lo
	v_sub_co_ci_u32_e32 v4, vcc_lo, 0, v4, vcc_lo
	v_sub_co_u32 v6, vcc_lo, v3, s14
	s_delay_alu instid0(VALU_DEP_1) | instskip(SKIP_3) | instid1(VALU_DEP_3)
	v_subrev_co_ci_u32_e64 v7, s2, 0, v5, vcc_lo
	v_cmp_le_u32_e64 s2, s14, v3
	v_subrev_co_ci_u32_e32 v5, vcc_lo, s15, v5, vcc_lo
	v_cmp_le_u32_e32 vcc_lo, s15, v4
	v_cndmask_b32_e64 v8, 0, -1, s2
	v_cmp_le_u32_e64 s2, s14, v6
	v_cndmask_b32_e64 v15, 0, -1, vcc_lo
	v_cmp_eq_u32_e32 vcc_lo, s15, v7
	s_delay_alu instid0(VALU_DEP_3) | instskip(SKIP_1) | instid1(VALU_DEP_1)
	v_cndmask_b32_e64 v13, 0, -1, s2
	v_cmp_le_u32_e64 s2, s15, v7
	v_cndmask_b32_e64 v14, 0, -1, s2
	v_cmp_eq_u32_e64 s2, s15, v4
	s_delay_alu instid0(VALU_DEP_2) | instskip(SKIP_2) | instid1(VALU_DEP_3)
	v_cndmask_b32_e32 v13, v14, v13, vcc_lo
	v_sub_co_u32 v14, vcc_lo, v6, s14
	v_subrev_co_ci_u32_e32 v5, vcc_lo, 0, v5, vcc_lo
	v_cmp_ne_u32_e32 vcc_lo, 0, v13
	v_cndmask_b32_e64 v8, v15, v8, s2
	s_delay_alu instid0(VALU_DEP_3) | instskip(NEXT) | instid1(VALU_DEP_2)
	v_dual_cndmask_b32 v5, v7, v5 :: v_dual_cndmask_b32 v6, v6, v14
	v_cmp_ne_u32_e32 vcc_lo, 0, v8
	s_delay_alu instid0(VALU_DEP_2) | instskip(NEXT) | instid1(VALU_DEP_1)
	v_dual_cndmask_b32 v3, v3, v6 :: v_dual_cndmask_b32 v4, v4, v5
	v_sub_co_u32 v7, vcc_lo, v3, 0
	s_delay_alu instid0(VALU_DEP_2)
	v_subrev_co_ci_u32_e32 v8, vcc_lo, 0, v4, vcc_lo
.LBB53_12:
	s_and_not1_saveexec_b32 s2, s3
	s_cbranch_execz .LBB53_14
; %bb.13:
	v_cvt_f32_u32_e32 v3, s10
	s_sub_i32 s3, 0, s10
	v_mov_b32_e32 v8, 0
	s_delay_alu instid0(VALU_DEP_2) | instskip(SKIP_2) | instid1(VALU_DEP_1)
	v_rcp_iflag_f32_e32 v3, v3
	s_waitcnt_depctr 0xfff
	v_mul_f32_e32 v3, 0x4f7ffffe, v3
	v_cvt_u32_f32_e32 v3, v3
	s_delay_alu instid0(VALU_DEP_1) | instskip(NEXT) | instid1(VALU_DEP_1)
	v_mul_lo_u32 v4, s3, v3
	v_mul_hi_u32 v4, v3, v4
	s_delay_alu instid0(VALU_DEP_1) | instskip(NEXT) | instid1(VALU_DEP_1)
	v_add_nc_u32_e32 v3, v3, v4
	v_mul_hi_u32 v3, v1, v3
	s_delay_alu instid0(VALU_DEP_1) | instskip(NEXT) | instid1(VALU_DEP_1)
	v_mul_lo_u32 v3, v3, s10
	v_sub_nc_u32_e32 v3, v1, v3
	s_delay_alu instid0(VALU_DEP_1) | instskip(SKIP_1) | instid1(VALU_DEP_2)
	v_subrev_nc_u32_e32 v4, s10, v3
	v_cmp_le_u32_e32 vcc_lo, s10, v3
	v_cndmask_b32_e32 v3, v3, v4, vcc_lo
	s_delay_alu instid0(VALU_DEP_1) | instskip(SKIP_1) | instid1(VALU_DEP_2)
	v_subrev_nc_u32_e32 v4, s10, v3
	v_cmp_le_u32_e32 vcc_lo, s10, v3
	v_cndmask_b32_e32 v7, v3, v4, vcc_lo
.LBB53_14:
	s_or_b32 exec_lo, exec_lo, s2
	v_lshlrev_b64 v[1:2], 3, v[1:2]
	s_delay_alu instid0(VALU_DEP_1) | instskip(NEXT) | instid1(VALU_DEP_2)
	v_add_co_u32 v3, vcc_lo, s6, v1
	v_add_co_ci_u32_e32 v4, vcc_lo, s7, v2, vcc_lo
	global_load_b64 v[3:4], v[3:4], off
	s_waitcnt vmcnt(0)
	v_sub_co_u32 v3, vcc_lo, v3, s12
	v_subrev_co_ci_u32_e32 v4, vcc_lo, 0, v4, vcc_lo
	s_delay_alu instid0(VALU_DEP_1)
	v_cmp_lt_i64_e32 vcc_lo, -1, v[3:4]
	s_and_b32 exec_lo, exec_lo, vcc_lo
	s_cbranch_execz .LBB53_37
; %bb.15:
	s_clause 0x1
	s_load_b128 s[12:15], s[0:1], 0x0
	s_load_b64 s[2:3], s[0:1], 0x40
	s_waitcnt lgkmcnt(0)
	s_cmp_eq_u32 s14, 1
	s_cselect_b32 s10, -1, 0
	s_cmpk_eq_i32 s12, 0x6f
	s_cselect_b32 s11, -1, 0
	s_cmpk_lg_i32 s12, 0x6f
	s_cselect_b32 s6, -1, 0
	s_cmp_lg_u32 s14, 1
	s_cbranch_scc0 .LBB53_21
; %bb.16:
	v_dual_mov_b32 v5, v7 :: v_dual_mov_b32 v6, v8
	s_and_not1_b32 vcc_lo, exec_lo, s11
	s_cbranch_vccnz .LBB53_18
; %bb.17:
	v_mul_lo_u32 v13, v8, s2
	v_mul_lo_u32 v14, v7, s3
	v_mad_u64_u32 v[5:6], null, v7, s2, 0
	s_delay_alu instid0(VALU_DEP_1)
	v_add3_u32 v6, v6, v14, v13
.LBB53_18:
	s_cbranch_execz .LBB53_22
	s_branch .LBB53_25
.LBB53_19:
	v_dual_mov_b32 v2, s2 :: v_dual_mov_b32 v3, s3
	flat_load_b32 v10, v[2:3] offset:4
	v_cmp_ne_u32_e32 vcc_lo, 1, v1
	s_waitcnt lgkmcnt(0)
	v_mov_b32_e32 v11, s6
	s_cbranch_vccnz .LBB53_4
.LBB53_20:
	v_dual_mov_b32 v2, s6 :: v_dual_mov_b32 v3, s7
	flat_load_b32 v11, v[2:3]
	v_cmp_ne_u32_e32 vcc_lo, 1, v1
	v_mov_b32_e32 v12, s7
	s_cbranch_vccz .LBB53_5
	s_branch .LBB53_6
.LBB53_21:
                                        ; implicit-def: $vgpr5_vgpr6
.LBB53_22:
	s_and_not1_b32 vcc_lo, exec_lo, s6
	s_cbranch_vccnz .LBB53_24
; %bb.23:
	v_mul_lo_u32 v8, v8, s2
	v_mul_lo_u32 v13, v7, s3
	v_mad_u64_u32 v[5:6], null, v7, s2, 0
	s_delay_alu instid0(VALU_DEP_1) | instskip(NEXT) | instid1(VALU_DEP_1)
	v_add3_u32 v6, v6, v13, v8
	v_dual_mov_b32 v8, v6 :: v_dual_mov_b32 v7, v5
.LBB53_24:
	s_delay_alu instid0(VALU_DEP_1)
	v_dual_mov_b32 v5, v7 :: v_dual_mov_b32 v6, v8
.LBB53_25:
	s_cmp_eq_u32 s15, 1
	s_cselect_b32 s12, -1, 0
	s_cmpk_eq_i32 s13, 0x6f
	s_cselect_b32 s14, -1, 0
	s_cmpk_lg_i32 s13, 0x6f
	s_cselect_b32 s6, -1, 0
	s_cmp_lg_u32 s15, 1
	s_cbranch_scc0 .LBB53_29
; %bb.26:
	v_dual_mov_b32 v8, v4 :: v_dual_mov_b32 v7, v3
	s_and_not1_b32 vcc_lo, exec_lo, s6
	s_cbranch_vccnz .LBB53_28
; %bb.27:
	v_mul_lo_u32 v13, v4, s4
	v_mul_lo_u32 v14, v3, s5
	v_mad_u64_u32 v[7:8], null, v3, s4, 0
	s_delay_alu instid0(VALU_DEP_1)
	v_add3_u32 v8, v8, v14, v13
.LBB53_28:
	s_cbranch_execz .LBB53_30
	s_branch .LBB53_33
.LBB53_29:
                                        ; implicit-def: $vgpr7_vgpr8
.LBB53_30:
	s_and_not1_b32 vcc_lo, exec_lo, s14
	s_cbranch_vccnz .LBB53_32
; %bb.31:
	v_mul_lo_u32 v4, v4, s4
	v_mul_lo_u32 v13, v3, s5
	v_mad_u64_u32 v[7:8], null, v3, s4, 0
	s_delay_alu instid0(VALU_DEP_1) | instskip(NEXT) | instid1(VALU_DEP_1)
	v_add3_u32 v8, v8, v13, v4
	v_dual_mov_b32 v3, v7 :: v_dual_mov_b32 v4, v8
.LBB53_32:
	s_delay_alu instid0(VALU_DEP_1)
	v_dual_mov_b32 v8, v4 :: v_dual_mov_b32 v7, v3
.LBB53_33:
	s_load_b64 s[6:7], s[0:1], 0x60
	v_cmp_lt_i64_e64 s13, s[8:9], 1
	v_dual_mov_b32 v4, 0 :: v_dual_mov_b32 v3, 0
	s_delay_alu instid0(VALU_DEP_2)
	s_and_b32 vcc_lo, exec_lo, s13
	s_cbranch_vccnz .LBB53_36
; %bb.34:
	s_clause 0x1
	s_load_b64 s[16:17], s[0:1], 0x48
	s_load_b64 s[0:1], s[0:1], 0x38
	v_lshlrev_b64 v[7:8], 3, v[7:8]
	v_lshlrev_b64 v[5:6], 3, v[5:6]
	s_xor_b32 s10, s11, s10
	v_mov_b32_e32 v4, 0
	s_and_b32 s10, s10, exec_lo
	s_cselect_b32 s3, 0, s3
	s_cselect_b32 s2, 1, s2
	s_xor_b32 s10, s14, s12
	s_delay_alu instid0(SALU_CYCLE_1)
	s_and_b32 s10, s10, exec_lo
	s_cselect_b32 s5, s5, 0
	s_cselect_b32 s4, s4, 1
	s_lshl_b64 s[2:3], s[2:3], 3
	s_waitcnt lgkmcnt(0)
	v_add_co_u32 v3, vcc_lo, v7, s16
	v_add_co_ci_u32_e32 v8, vcc_lo, s17, v8, vcc_lo
	v_add_co_u32 v5, vcc_lo, s0, v5
	v_add_co_ci_u32_e32 v6, vcc_lo, s1, v6, vcc_lo
	s_delay_alu instid0(VALU_DEP_4)
	v_add_co_u32 v7, vcc_lo, v3, 4
	v_mov_b32_e32 v3, 0
	v_add_co_ci_u32_e32 v8, vcc_lo, 0, v8, vcc_lo
	s_lshl_b64 s[0:1], s[4:5], 3
	.p2align	6
.LBB53_35:                              ; =>This Inner Loop Header: Depth=1
	global_load_b64 v[13:14], v[5:6], off
	global_load_b64 v[15:16], v[7:8], off offset:-4
	v_add_co_u32 v7, vcc_lo, v7, s0
	v_add_co_ci_u32_e32 v8, vcc_lo, s1, v8, vcc_lo
	v_add_co_u32 v5, vcc_lo, v5, s2
	s_add_u32 s8, s8, -1
	v_add_co_ci_u32_e32 v6, vcc_lo, s3, v6, vcc_lo
	s_addc_u32 s9, s9, -1
	s_delay_alu instid0(SALU_CYCLE_1) | instskip(SKIP_2) | instid1(VALU_DEP_1)
	s_cmp_eq_u64 s[8:9], 0
	s_waitcnt vmcnt(0)
	v_mul_f32_e64 v17, v16, -v14
	v_dual_mul_f32 v16, v16, v13 :: v_dual_fmac_f32 v17, v13, v15
	s_delay_alu instid0(VALU_DEP_1) | instskip(NEXT) | instid1(VALU_DEP_1)
	v_dual_fmac_f32 v16, v14, v15 :: v_dual_add_f32 v3, v3, v17
	v_add_f32_e32 v4, v4, v16
	s_cbranch_scc0 .LBB53_35
.LBB53_36:
	v_lshlrev_b32_e32 v5, 3, v0
	s_waitcnt lgkmcnt(0)
	v_add_co_u32 v0, vcc_lo, s6, v1
	v_add_co_ci_u32_e32 v1, vcc_lo, s7, v2, vcc_lo
	ds_store_b64 v5, v[3:4]
	s_waitcnt lgkmcnt(0)
	s_barrier
	buffer_gl0_inv
	global_load_b64 v[2:3], v[0:1], off
	s_waitcnt vmcnt(0)
	v_mul_f32_e32 v8, v12, v2
	ds_load_b64 v[4:5], v5
	v_mul_f32_e64 v7, v12, -v3
	v_fmac_f32_e32 v8, v3, v11
	s_delay_alu instid0(VALU_DEP_2) | instskip(SKIP_3) | instid1(VALU_DEP_2)
	v_fmac_f32_e32 v7, v2, v11
	s_waitcnt lgkmcnt(0)
	v_mul_f32_e64 v6, v5, -v10
	v_mul_f32_e32 v5, v5, v9
	v_fmac_f32_e32 v6, v9, v4
	s_delay_alu instid0(VALU_DEP_2) | instskip(NEXT) | instid1(VALU_DEP_1)
	v_fmac_f32_e32 v5, v10, v4
	v_dual_add_f32 v2, v6, v7 :: v_dual_add_f32 v3, v8, v5
	global_store_b64 v[0:1], v[2:3], off
.LBB53_37:
	s_nop 0
	s_sendmsg sendmsg(MSG_DEALLOC_VGPRS)
	s_endpgm
	.section	.rodata,"a",@progbits
	.p2align	6, 0x0
	.amdhsa_kernel _ZN9rocsparseL16sddmm_ell_kernelILi512ELi1E21rocsparse_complex_numIfEllS2_S2_S2_EEv20rocsparse_operation_S3_16rocsparse_order_S4_T3_S5_S5_T2_NS_24const_host_device_scalarIT1_EEPKT4_lPKT5_lS9_PT6_PKS5_21rocsparse_index_base_b
		.amdhsa_group_segment_fixed_size 4096
		.amdhsa_private_segment_fixed_size 0
		.amdhsa_kernarg_size 120
		.amdhsa_user_sgpr_count 15
		.amdhsa_user_sgpr_dispatch_ptr 0
		.amdhsa_user_sgpr_queue_ptr 0
		.amdhsa_user_sgpr_kernarg_segment_ptr 1
		.amdhsa_user_sgpr_dispatch_id 0
		.amdhsa_user_sgpr_private_segment_size 0
		.amdhsa_wavefront_size32 1
		.amdhsa_uses_dynamic_stack 0
		.amdhsa_enable_private_segment 0
		.amdhsa_system_sgpr_workgroup_id_x 1
		.amdhsa_system_sgpr_workgroup_id_y 0
		.amdhsa_system_sgpr_workgroup_id_z 0
		.amdhsa_system_sgpr_workgroup_info 0
		.amdhsa_system_vgpr_workitem_id 0
		.amdhsa_next_free_vgpr 18
		.amdhsa_next_free_sgpr 18
		.amdhsa_reserve_vcc 1
		.amdhsa_float_round_mode_32 0
		.amdhsa_float_round_mode_16_64 0
		.amdhsa_float_denorm_mode_32 3
		.amdhsa_float_denorm_mode_16_64 3
		.amdhsa_dx10_clamp 1
		.amdhsa_ieee_mode 1
		.amdhsa_fp16_overflow 0
		.amdhsa_workgroup_processor_mode 1
		.amdhsa_memory_ordered 1
		.amdhsa_forward_progress 0
		.amdhsa_shared_vgpr_count 0
		.amdhsa_exception_fp_ieee_invalid_op 0
		.amdhsa_exception_fp_denorm_src 0
		.amdhsa_exception_fp_ieee_div_zero 0
		.amdhsa_exception_fp_ieee_overflow 0
		.amdhsa_exception_fp_ieee_underflow 0
		.amdhsa_exception_fp_ieee_inexact 0
		.amdhsa_exception_int_div_zero 0
	.end_amdhsa_kernel
	.section	.text._ZN9rocsparseL16sddmm_ell_kernelILi512ELi1E21rocsparse_complex_numIfEllS2_S2_S2_EEv20rocsparse_operation_S3_16rocsparse_order_S4_T3_S5_S5_T2_NS_24const_host_device_scalarIT1_EEPKT4_lPKT5_lS9_PT6_PKS5_21rocsparse_index_base_b,"axG",@progbits,_ZN9rocsparseL16sddmm_ell_kernelILi512ELi1E21rocsparse_complex_numIfEllS2_S2_S2_EEv20rocsparse_operation_S3_16rocsparse_order_S4_T3_S5_S5_T2_NS_24const_host_device_scalarIT1_EEPKT4_lPKT5_lS9_PT6_PKS5_21rocsparse_index_base_b,comdat
.Lfunc_end53:
	.size	_ZN9rocsparseL16sddmm_ell_kernelILi512ELi1E21rocsparse_complex_numIfEllS2_S2_S2_EEv20rocsparse_operation_S3_16rocsparse_order_S4_T3_S5_S5_T2_NS_24const_host_device_scalarIT1_EEPKT4_lPKT5_lS9_PT6_PKS5_21rocsparse_index_base_b, .Lfunc_end53-_ZN9rocsparseL16sddmm_ell_kernelILi512ELi1E21rocsparse_complex_numIfEllS2_S2_S2_EEv20rocsparse_operation_S3_16rocsparse_order_S4_T3_S5_S5_T2_NS_24const_host_device_scalarIT1_EEPKT4_lPKT5_lS9_PT6_PKS5_21rocsparse_index_base_b
                                        ; -- End function
	.section	.AMDGPU.csdata,"",@progbits
; Kernel info:
; codeLenInByte = 2108
; NumSgprs: 20
; NumVgprs: 18
; ScratchSize: 0
; MemoryBound: 0
; FloatMode: 240
; IeeeMode: 1
; LDSByteSize: 4096 bytes/workgroup (compile time only)
; SGPRBlocks: 2
; VGPRBlocks: 2
; NumSGPRsForWavesPerEU: 20
; NumVGPRsForWavesPerEU: 18
; Occupancy: 16
; WaveLimiterHint : 0
; COMPUTE_PGM_RSRC2:SCRATCH_EN: 0
; COMPUTE_PGM_RSRC2:USER_SGPR: 15
; COMPUTE_PGM_RSRC2:TRAP_HANDLER: 0
; COMPUTE_PGM_RSRC2:TGID_X_EN: 1
; COMPUTE_PGM_RSRC2:TGID_Y_EN: 0
; COMPUTE_PGM_RSRC2:TGID_Z_EN: 0
; COMPUTE_PGM_RSRC2:TIDIG_COMP_CNT: 0
	.section	.text._ZN9rocsparseL23sddmm_ell_sample_kernelILi16ELi32E21rocsparse_complex_numIdElS2_EEvT2_S3_PKT3_lS3_PS4_PKS3_21rocsparse_index_base_,"axG",@progbits,_ZN9rocsparseL23sddmm_ell_sample_kernelILi16ELi32E21rocsparse_complex_numIdElS2_EEvT2_S3_PKT3_lS3_PS4_PKS3_21rocsparse_index_base_,comdat
	.globl	_ZN9rocsparseL23sddmm_ell_sample_kernelILi16ELi32E21rocsparse_complex_numIdElS2_EEvT2_S3_PKT3_lS3_PS4_PKS3_21rocsparse_index_base_ ; -- Begin function _ZN9rocsparseL23sddmm_ell_sample_kernelILi16ELi32E21rocsparse_complex_numIdElS2_EEvT2_S3_PKT3_lS3_PS4_PKS3_21rocsparse_index_base_
	.p2align	8
	.type	_ZN9rocsparseL23sddmm_ell_sample_kernelILi16ELi32E21rocsparse_complex_numIdElS2_EEvT2_S3_PKT3_lS3_PS4_PKS3_21rocsparse_index_base_,@function
_ZN9rocsparseL23sddmm_ell_sample_kernelILi16ELi32E21rocsparse_complex_numIdElS2_EEvT2_S3_PKT3_lS3_PS4_PKS3_21rocsparse_index_base_: ; @_ZN9rocsparseL23sddmm_ell_sample_kernelILi16ELi32E21rocsparse_complex_numIdElS2_EEvT2_S3_PKT3_lS3_PS4_PKS3_21rocsparse_index_base_
; %bb.0:
	s_load_b128 s[8:11], s[0:1], 0x18
	v_lshrrev_b32_e32 v2, 5, v0
	v_mov_b32_e32 v1, 0
	s_mov_b32 s2, exec_lo
	s_delay_alu instid0(VALU_DEP_2) | instskip(NEXT) | instid1(VALU_DEP_2)
	v_lshl_or_b32 v2, s15, 4, v2
	v_mov_b32_e32 v3, v1
	s_waitcnt lgkmcnt(0)
	s_delay_alu instid0(VALU_DEP_1)
	v_cmpx_gt_i64_e64 s[10:11], v[2:3]
	s_cbranch_execz .LBB54_6
; %bb.1:
	s_load_b128 s[4:7], s[0:1], 0x0
	v_and_b32_e32 v0, 31, v0
	s_waitcnt lgkmcnt(0)
	s_delay_alu instid0(VALU_DEP_1)
	v_cmp_gt_i64_e32 vcc_lo, s[4:5], v[0:1]
	s_and_b32 exec_lo, exec_lo, vcc_lo
	s_cbranch_execz .LBB54_6
; %bb.2:
	v_mad_u64_u32 v[3:4], null, v2, s4, v[0:1]
	s_clause 0x2
	s_load_b128 s[12:15], s[0:1], 0x28
	s_load_b64 s[2:3], s[0:1], 0x10
	s_load_b32 s1, s[0:1], 0x38
	s_mov_b32 s10, 0
	v_lshlrev_b32_e32 v9, 4, v0
	s_delay_alu instid0(VALU_DEP_2) | instskip(NEXT) | instid1(VALU_DEP_1)
	v_mad_u64_u32 v[5:6], null, v2, s5, v[4:5]
	v_mov_b32_e32 v4, v5
	s_delay_alu instid0(VALU_DEP_1) | instskip(SKIP_2) | instid1(VALU_DEP_2)
	v_lshlrev_b64 v[5:6], 3, v[3:4]
	v_lshlrev_b64 v[7:8], 4, v[3:4]
	s_waitcnt lgkmcnt(0)
	v_add_co_u32 v2, vcc_lo, s14, v5
	s_delay_alu instid0(VALU_DEP_3) | instskip(NEXT) | instid1(VALU_DEP_3)
	v_add_co_ci_u32_e32 v3, vcc_lo, s15, v6, vcc_lo
	v_add_co_u32 v4, vcc_lo, s12, v7
	v_add_co_u32 v6, s0, s2, v9
	v_add_co_ci_u32_e32 v5, vcc_lo, s13, v8, vcc_lo
	v_add_co_ci_u32_e64 v7, null, s3, 0, s0
	s_lshl_b64 s[2:3], s[8:9], 4
	s_set_inst_prefetch_distance 0x1
	s_branch .LBB54_4
	.p2align	6
.LBB54_3:                               ;   in Loop: Header=BB54_4 Depth=1
	s_or_b32 exec_lo, exec_lo, s0
	v_add_co_u32 v0, vcc_lo, v0, 32
	v_add_co_ci_u32_e32 v1, vcc_lo, 0, v1, vcc_lo
	v_add_co_u32 v2, vcc_lo, 0x100, v2
	v_add_co_ci_u32_e32 v3, vcc_lo, 0, v3, vcc_lo
	;; [unrolled: 2-line block ×3, first 2 shown]
	v_cmp_le_i64_e32 vcc_lo, s[4:5], v[0:1]
	v_add_co_u32 v6, s0, 0x200, v6
	s_delay_alu instid0(VALU_DEP_1) | instskip(SKIP_1) | instid1(SALU_CYCLE_1)
	v_add_co_ci_u32_e64 v7, s0, 0, v7, s0
	s_or_b32 s10, vcc_lo, s10
	s_and_not1_b32 exec_lo, exec_lo, s10
	s_cbranch_execz .LBB54_6
.LBB54_4:                               ; =>This Inner Loop Header: Depth=1
	global_load_b64 v[8:9], v[2:3], off
	s_waitcnt vmcnt(0)
	v_sub_co_u32 v8, vcc_lo, v8, s1
	v_subrev_co_ci_u32_e32 v9, vcc_lo, 0, v9, vcc_lo
	s_delay_alu instid0(VALU_DEP_1) | instskip(SKIP_1) | instid1(VALU_DEP_1)
	v_cmp_lt_i64_e32 vcc_lo, -1, v[8:9]
	v_cmp_gt_i64_e64 s0, s[6:7], v[8:9]
	s_and_b32 s8, vcc_lo, s0
	s_delay_alu instid0(SALU_CYCLE_1)
	s_and_saveexec_b32 s0, s8
	s_cbranch_execz .LBB54_3
; %bb.5:                                ;   in Loop: Header=BB54_4 Depth=1
	v_mad_u64_u32 v[10:11], null, s2, v8, v[6:7]
	v_mul_lo_u32 v9, s2, v9
	v_mul_lo_u32 v8, s3, v8
	s_delay_alu instid0(VALU_DEP_1)
	v_add3_u32 v11, v8, v11, v9
	global_load_b128 v[8:11], v[10:11], off
	s_waitcnt vmcnt(0)
	global_store_b128 v[4:5], v[8:11], off
	s_branch .LBB54_3
.LBB54_6:
	s_set_inst_prefetch_distance 0x2
	s_nop 0
	s_sendmsg sendmsg(MSG_DEALLOC_VGPRS)
	s_endpgm
	.section	.rodata,"a",@progbits
	.p2align	6, 0x0
	.amdhsa_kernel _ZN9rocsparseL23sddmm_ell_sample_kernelILi16ELi32E21rocsparse_complex_numIdElS2_EEvT2_S3_PKT3_lS3_PS4_PKS3_21rocsparse_index_base_
		.amdhsa_group_segment_fixed_size 0
		.amdhsa_private_segment_fixed_size 0
		.amdhsa_kernarg_size 60
		.amdhsa_user_sgpr_count 15
		.amdhsa_user_sgpr_dispatch_ptr 0
		.amdhsa_user_sgpr_queue_ptr 0
		.amdhsa_user_sgpr_kernarg_segment_ptr 1
		.amdhsa_user_sgpr_dispatch_id 0
		.amdhsa_user_sgpr_private_segment_size 0
		.amdhsa_wavefront_size32 1
		.amdhsa_uses_dynamic_stack 0
		.amdhsa_enable_private_segment 0
		.amdhsa_system_sgpr_workgroup_id_x 1
		.amdhsa_system_sgpr_workgroup_id_y 0
		.amdhsa_system_sgpr_workgroup_id_z 0
		.amdhsa_system_sgpr_workgroup_info 0
		.amdhsa_system_vgpr_workitem_id 0
		.amdhsa_next_free_vgpr 12
		.amdhsa_next_free_sgpr 16
		.amdhsa_reserve_vcc 1
		.amdhsa_float_round_mode_32 0
		.amdhsa_float_round_mode_16_64 0
		.amdhsa_float_denorm_mode_32 3
		.amdhsa_float_denorm_mode_16_64 3
		.amdhsa_dx10_clamp 1
		.amdhsa_ieee_mode 1
		.amdhsa_fp16_overflow 0
		.amdhsa_workgroup_processor_mode 1
		.amdhsa_memory_ordered 1
		.amdhsa_forward_progress 0
		.amdhsa_shared_vgpr_count 0
		.amdhsa_exception_fp_ieee_invalid_op 0
		.amdhsa_exception_fp_denorm_src 0
		.amdhsa_exception_fp_ieee_div_zero 0
		.amdhsa_exception_fp_ieee_overflow 0
		.amdhsa_exception_fp_ieee_underflow 0
		.amdhsa_exception_fp_ieee_inexact 0
		.amdhsa_exception_int_div_zero 0
	.end_amdhsa_kernel
	.section	.text._ZN9rocsparseL23sddmm_ell_sample_kernelILi16ELi32E21rocsparse_complex_numIdElS2_EEvT2_S3_PKT3_lS3_PS4_PKS3_21rocsparse_index_base_,"axG",@progbits,_ZN9rocsparseL23sddmm_ell_sample_kernelILi16ELi32E21rocsparse_complex_numIdElS2_EEvT2_S3_PKT3_lS3_PS4_PKS3_21rocsparse_index_base_,comdat
.Lfunc_end54:
	.size	_ZN9rocsparseL23sddmm_ell_sample_kernelILi16ELi32E21rocsparse_complex_numIdElS2_EEvT2_S3_PKT3_lS3_PS4_PKS3_21rocsparse_index_base_, .Lfunc_end54-_ZN9rocsparseL23sddmm_ell_sample_kernelILi16ELi32E21rocsparse_complex_numIdElS2_EEvT2_S3_PKT3_lS3_PS4_PKS3_21rocsparse_index_base_
                                        ; -- End function
	.section	.AMDGPU.csdata,"",@progbits
; Kernel info:
; codeLenInByte = 448
; NumSgprs: 18
; NumVgprs: 12
; ScratchSize: 0
; MemoryBound: 0
; FloatMode: 240
; IeeeMode: 1
; LDSByteSize: 0 bytes/workgroup (compile time only)
; SGPRBlocks: 2
; VGPRBlocks: 1
; NumSGPRsForWavesPerEU: 18
; NumVGPRsForWavesPerEU: 12
; Occupancy: 16
; WaveLimiterHint : 0
; COMPUTE_PGM_RSRC2:SCRATCH_EN: 0
; COMPUTE_PGM_RSRC2:USER_SGPR: 15
; COMPUTE_PGM_RSRC2:TRAP_HANDLER: 0
; COMPUTE_PGM_RSRC2:TGID_X_EN: 1
; COMPUTE_PGM_RSRC2:TGID_Y_EN: 0
; COMPUTE_PGM_RSRC2:TGID_Z_EN: 0
; COMPUTE_PGM_RSRC2:TIDIG_COMP_CNT: 0
	.section	.text._ZN9rocsparseL23sddmm_ell_sample_kernelILi16ELi64E21rocsparse_complex_numIdElS2_EEvT2_S3_PKT3_lS3_PS4_PKS3_21rocsparse_index_base_,"axG",@progbits,_ZN9rocsparseL23sddmm_ell_sample_kernelILi16ELi64E21rocsparse_complex_numIdElS2_EEvT2_S3_PKT3_lS3_PS4_PKS3_21rocsparse_index_base_,comdat
	.globl	_ZN9rocsparseL23sddmm_ell_sample_kernelILi16ELi64E21rocsparse_complex_numIdElS2_EEvT2_S3_PKT3_lS3_PS4_PKS3_21rocsparse_index_base_ ; -- Begin function _ZN9rocsparseL23sddmm_ell_sample_kernelILi16ELi64E21rocsparse_complex_numIdElS2_EEvT2_S3_PKT3_lS3_PS4_PKS3_21rocsparse_index_base_
	.p2align	8
	.type	_ZN9rocsparseL23sddmm_ell_sample_kernelILi16ELi64E21rocsparse_complex_numIdElS2_EEvT2_S3_PKT3_lS3_PS4_PKS3_21rocsparse_index_base_,@function
_ZN9rocsparseL23sddmm_ell_sample_kernelILi16ELi64E21rocsparse_complex_numIdElS2_EEvT2_S3_PKT3_lS3_PS4_PKS3_21rocsparse_index_base_: ; @_ZN9rocsparseL23sddmm_ell_sample_kernelILi16ELi64E21rocsparse_complex_numIdElS2_EEvT2_S3_PKT3_lS3_PS4_PKS3_21rocsparse_index_base_
; %bb.0:
	s_load_b128 s[8:11], s[0:1], 0x18
	v_lshrrev_b32_e32 v2, 6, v0
	v_mov_b32_e32 v1, 0
	s_mov_b32 s2, exec_lo
	s_delay_alu instid0(VALU_DEP_2) | instskip(NEXT) | instid1(VALU_DEP_2)
	v_lshl_or_b32 v2, s15, 4, v2
	v_mov_b32_e32 v3, v1
	s_waitcnt lgkmcnt(0)
	s_delay_alu instid0(VALU_DEP_1)
	v_cmpx_gt_i64_e64 s[10:11], v[2:3]
	s_cbranch_execz .LBB55_6
; %bb.1:
	s_load_b128 s[4:7], s[0:1], 0x0
	v_and_b32_e32 v0, 63, v0
	s_waitcnt lgkmcnt(0)
	s_delay_alu instid0(VALU_DEP_1)
	v_cmp_gt_i64_e32 vcc_lo, s[4:5], v[0:1]
	s_and_b32 exec_lo, exec_lo, vcc_lo
	s_cbranch_execz .LBB55_6
; %bb.2:
	v_mad_u64_u32 v[3:4], null, v2, s4, v[0:1]
	s_clause 0x2
	s_load_b128 s[12:15], s[0:1], 0x28
	s_load_b64 s[2:3], s[0:1], 0x10
	s_load_b32 s1, s[0:1], 0x38
	s_mov_b32 s10, 0
	v_lshlrev_b32_e32 v9, 4, v0
	s_delay_alu instid0(VALU_DEP_2) | instskip(NEXT) | instid1(VALU_DEP_1)
	v_mad_u64_u32 v[5:6], null, v2, s5, v[4:5]
	v_mov_b32_e32 v4, v5
	s_delay_alu instid0(VALU_DEP_1) | instskip(SKIP_2) | instid1(VALU_DEP_2)
	v_lshlrev_b64 v[5:6], 3, v[3:4]
	v_lshlrev_b64 v[7:8], 4, v[3:4]
	s_waitcnt lgkmcnt(0)
	v_add_co_u32 v2, vcc_lo, s14, v5
	s_delay_alu instid0(VALU_DEP_3) | instskip(NEXT) | instid1(VALU_DEP_3)
	v_add_co_ci_u32_e32 v3, vcc_lo, s15, v6, vcc_lo
	v_add_co_u32 v4, vcc_lo, s12, v7
	v_add_co_u32 v6, s0, s2, v9
	v_add_co_ci_u32_e32 v5, vcc_lo, s13, v8, vcc_lo
	v_add_co_ci_u32_e64 v7, null, s3, 0, s0
	s_lshl_b64 s[2:3], s[8:9], 4
	s_set_inst_prefetch_distance 0x1
	s_branch .LBB55_4
	.p2align	6
.LBB55_3:                               ;   in Loop: Header=BB55_4 Depth=1
	s_or_b32 exec_lo, exec_lo, s0
	v_add_co_u32 v0, vcc_lo, v0, 64
	v_add_co_ci_u32_e32 v1, vcc_lo, 0, v1, vcc_lo
	v_add_co_u32 v2, vcc_lo, 0x200, v2
	v_add_co_ci_u32_e32 v3, vcc_lo, 0, v3, vcc_lo
	;; [unrolled: 2-line block ×3, first 2 shown]
	v_cmp_le_i64_e32 vcc_lo, s[4:5], v[0:1]
	v_add_co_u32 v6, s0, 0x400, v6
	s_delay_alu instid0(VALU_DEP_1) | instskip(SKIP_1) | instid1(SALU_CYCLE_1)
	v_add_co_ci_u32_e64 v7, s0, 0, v7, s0
	s_or_b32 s10, vcc_lo, s10
	s_and_not1_b32 exec_lo, exec_lo, s10
	s_cbranch_execz .LBB55_6
.LBB55_4:                               ; =>This Inner Loop Header: Depth=1
	global_load_b64 v[8:9], v[2:3], off
	s_waitcnt vmcnt(0)
	v_sub_co_u32 v8, vcc_lo, v8, s1
	v_subrev_co_ci_u32_e32 v9, vcc_lo, 0, v9, vcc_lo
	s_delay_alu instid0(VALU_DEP_1) | instskip(SKIP_1) | instid1(VALU_DEP_1)
	v_cmp_lt_i64_e32 vcc_lo, -1, v[8:9]
	v_cmp_gt_i64_e64 s0, s[6:7], v[8:9]
	s_and_b32 s8, vcc_lo, s0
	s_delay_alu instid0(SALU_CYCLE_1)
	s_and_saveexec_b32 s0, s8
	s_cbranch_execz .LBB55_3
; %bb.5:                                ;   in Loop: Header=BB55_4 Depth=1
	v_mad_u64_u32 v[10:11], null, s2, v8, v[6:7]
	v_mul_lo_u32 v9, s2, v9
	v_mul_lo_u32 v8, s3, v8
	s_delay_alu instid0(VALU_DEP_1)
	v_add3_u32 v11, v8, v11, v9
	global_load_b128 v[8:11], v[10:11], off
	s_waitcnt vmcnt(0)
	global_store_b128 v[4:5], v[8:11], off
	s_branch .LBB55_3
.LBB55_6:
	s_set_inst_prefetch_distance 0x2
	s_nop 0
	s_sendmsg sendmsg(MSG_DEALLOC_VGPRS)
	s_endpgm
	.section	.rodata,"a",@progbits
	.p2align	6, 0x0
	.amdhsa_kernel _ZN9rocsparseL23sddmm_ell_sample_kernelILi16ELi64E21rocsparse_complex_numIdElS2_EEvT2_S3_PKT3_lS3_PS4_PKS3_21rocsparse_index_base_
		.amdhsa_group_segment_fixed_size 0
		.amdhsa_private_segment_fixed_size 0
		.amdhsa_kernarg_size 60
		.amdhsa_user_sgpr_count 15
		.amdhsa_user_sgpr_dispatch_ptr 0
		.amdhsa_user_sgpr_queue_ptr 0
		.amdhsa_user_sgpr_kernarg_segment_ptr 1
		.amdhsa_user_sgpr_dispatch_id 0
		.amdhsa_user_sgpr_private_segment_size 0
		.amdhsa_wavefront_size32 1
		.amdhsa_uses_dynamic_stack 0
		.amdhsa_enable_private_segment 0
		.amdhsa_system_sgpr_workgroup_id_x 1
		.amdhsa_system_sgpr_workgroup_id_y 0
		.amdhsa_system_sgpr_workgroup_id_z 0
		.amdhsa_system_sgpr_workgroup_info 0
		.amdhsa_system_vgpr_workitem_id 0
		.amdhsa_next_free_vgpr 12
		.amdhsa_next_free_sgpr 16
		.amdhsa_reserve_vcc 1
		.amdhsa_float_round_mode_32 0
		.amdhsa_float_round_mode_16_64 0
		.amdhsa_float_denorm_mode_32 3
		.amdhsa_float_denorm_mode_16_64 3
		.amdhsa_dx10_clamp 1
		.amdhsa_ieee_mode 1
		.amdhsa_fp16_overflow 0
		.amdhsa_workgroup_processor_mode 1
		.amdhsa_memory_ordered 1
		.amdhsa_forward_progress 0
		.amdhsa_shared_vgpr_count 0
		.amdhsa_exception_fp_ieee_invalid_op 0
		.amdhsa_exception_fp_denorm_src 0
		.amdhsa_exception_fp_ieee_div_zero 0
		.amdhsa_exception_fp_ieee_overflow 0
		.amdhsa_exception_fp_ieee_underflow 0
		.amdhsa_exception_fp_ieee_inexact 0
		.amdhsa_exception_int_div_zero 0
	.end_amdhsa_kernel
	.section	.text._ZN9rocsparseL23sddmm_ell_sample_kernelILi16ELi64E21rocsparse_complex_numIdElS2_EEvT2_S3_PKT3_lS3_PS4_PKS3_21rocsparse_index_base_,"axG",@progbits,_ZN9rocsparseL23sddmm_ell_sample_kernelILi16ELi64E21rocsparse_complex_numIdElS2_EEvT2_S3_PKT3_lS3_PS4_PKS3_21rocsparse_index_base_,comdat
.Lfunc_end55:
	.size	_ZN9rocsparseL23sddmm_ell_sample_kernelILi16ELi64E21rocsparse_complex_numIdElS2_EEvT2_S3_PKT3_lS3_PS4_PKS3_21rocsparse_index_base_, .Lfunc_end55-_ZN9rocsparseL23sddmm_ell_sample_kernelILi16ELi64E21rocsparse_complex_numIdElS2_EEvT2_S3_PKT3_lS3_PS4_PKS3_21rocsparse_index_base_
                                        ; -- End function
	.section	.AMDGPU.csdata,"",@progbits
; Kernel info:
; codeLenInByte = 448
; NumSgprs: 18
; NumVgprs: 12
; ScratchSize: 0
; MemoryBound: 0
; FloatMode: 240
; IeeeMode: 1
; LDSByteSize: 0 bytes/workgroup (compile time only)
; SGPRBlocks: 2
; VGPRBlocks: 1
; NumSGPRsForWavesPerEU: 18
; NumVGPRsForWavesPerEU: 12
; Occupancy: 16
; WaveLimiterHint : 0
; COMPUTE_PGM_RSRC2:SCRATCH_EN: 0
; COMPUTE_PGM_RSRC2:USER_SGPR: 15
; COMPUTE_PGM_RSRC2:TRAP_HANDLER: 0
; COMPUTE_PGM_RSRC2:TGID_X_EN: 1
; COMPUTE_PGM_RSRC2:TGID_Y_EN: 0
; COMPUTE_PGM_RSRC2:TGID_Z_EN: 0
; COMPUTE_PGM_RSRC2:TIDIG_COMP_CNT: 0
	.section	.text._ZN9rocsparseL16sddmm_ell_kernelILi512ELi8E21rocsparse_complex_numIdEllS2_S2_S2_EEv20rocsparse_operation_S3_16rocsparse_order_S4_T3_S5_S5_T2_NS_24const_host_device_scalarIT1_EEPKT4_lPKT5_lS9_PT6_PKS5_21rocsparse_index_base_b,"axG",@progbits,_ZN9rocsparseL16sddmm_ell_kernelILi512ELi8E21rocsparse_complex_numIdEllS2_S2_S2_EEv20rocsparse_operation_S3_16rocsparse_order_S4_T3_S5_S5_T2_NS_24const_host_device_scalarIT1_EEPKT4_lPKT5_lS9_PT6_PKS5_21rocsparse_index_base_b,comdat
	.globl	_ZN9rocsparseL16sddmm_ell_kernelILi512ELi8E21rocsparse_complex_numIdEllS2_S2_S2_EEv20rocsparse_operation_S3_16rocsparse_order_S4_T3_S5_S5_T2_NS_24const_host_device_scalarIT1_EEPKT4_lPKT5_lS9_PT6_PKS5_21rocsparse_index_base_b ; -- Begin function _ZN9rocsparseL16sddmm_ell_kernelILi512ELi8E21rocsparse_complex_numIdEllS2_S2_S2_EEv20rocsparse_operation_S3_16rocsparse_order_S4_T3_S5_S5_T2_NS_24const_host_device_scalarIT1_EEPKT4_lPKT5_lS9_PT6_PKS5_21rocsparse_index_base_b
	.p2align	8
	.type	_ZN9rocsparseL16sddmm_ell_kernelILi512ELi8E21rocsparse_complex_numIdEllS2_S2_S2_EEv20rocsparse_operation_S3_16rocsparse_order_S4_T3_S5_S5_T2_NS_24const_host_device_scalarIT1_EEPKT4_lPKT5_lS9_PT6_PKS5_21rocsparse_index_base_b,@function
_ZN9rocsparseL16sddmm_ell_kernelILi512ELi8E21rocsparse_complex_numIdEllS2_S2_S2_EEv20rocsparse_operation_S3_16rocsparse_order_S4_T3_S5_S5_T2_NS_24const_host_device_scalarIT1_EEPKT4_lPKT5_lS9_PT6_PKS5_21rocsparse_index_base_b: ; @_ZN9rocsparseL16sddmm_ell_kernelILi512ELi8E21rocsparse_complex_numIdEllS2_S2_S2_EEv20rocsparse_operation_S3_16rocsparse_order_S4_T3_S5_S5_T2_NS_24const_host_device_scalarIT1_EEPKT4_lPKT5_lS9_PT6_PKS5_21rocsparse_index_base_b
; %bb.0:
	s_clause 0x1
	s_load_b64 s[12:13], s[2:3], 0x80
	s_load_b256 s[4:11], s[2:3], 0x20
	s_load_b64 s[20:21], s[0:1], 0x4
	s_mov_b64 s[0:1], src_shared_base
	v_and_b32_e32 v14, 0x3ff, v0
	s_load_b128 s[16:19], s[2:3], 0x58
	v_bfe_u32 v2, v0, 10, 10
	v_bfe_u32 v0, v0, 20, 10
	s_waitcnt lgkmcnt(0)
	s_bitcmp1_b32 s13, 0
	s_cselect_b32 s0, -1, 0
	s_delay_alu instid0(SALU_CYCLE_1) | instskip(SKIP_4) | instid1(SALU_CYCLE_1)
	s_and_b32 vcc_lo, s0, exec_lo
	s_cselect_b32 s13, s1, s9
	s_lshr_b32 s14, s20, 16
	v_mov_b32_e32 v5, s13
	s_mul_i32 s14, s14, s21
	v_mul_lo_u32 v1, s14, v14
	s_delay_alu instid0(VALU_DEP_1) | instskip(SKIP_2) | instid1(VALU_DEP_2)
	v_mad_u32_u24 v1, v2, s21, v1
	s_load_b64 s[20:21], s[2:3], 0x68
	v_dual_mov_b32 v2, s18 :: v_dual_mov_b32 v3, s19
	v_add_lshl_u32 v6, v1, v0, 3
	v_dual_mov_b32 v0, s8 :: v_dual_mov_b32 v1, s9
	s_delay_alu instid0(VALU_DEP_2)
	v_add_nc_u32_e32 v4, 0x3000, v6
	ds_store_2addr_stride64_b64 v6, v[2:3], v[0:1] offset0:16 offset1:24
	v_add_nc_u32_e32 v0, 0x2000, v6
	v_mov_b32_e32 v6, s10
	v_cndmask_b32_e64 v4, s8, v4, s0
	v_mov_b32_e32 v7, s11
	s_xor_b32 s10, s0, -1
	flat_load_b64 v[4:5], v[4:5]
	s_cbranch_vccnz .LBB56_2
; %bb.1:
	v_dual_mov_b32 v1, s8 :: v_dual_mov_b32 v2, s9
	flat_load_b64 v[6:7], v[1:2] offset:8
.LBB56_2:
	s_and_b32 s8, s0, exec_lo
	s_cselect_b32 s1, s1, s19
	v_cndmask_b32_e64 v0, s18, v0, s0
	s_waitcnt lgkmcnt(0)
	v_dual_mov_b32 v1, s1 :: v_dual_mov_b32 v10, s20
	v_mov_b32_e32 v11, s21
	s_and_not1_b32 vcc_lo, exec_lo, s10
	flat_load_b64 v[8:9], v[0:1]
	s_cbranch_vccnz .LBB56_4
; %bb.3:
	v_dual_mov_b32 v0, s18 :: v_dual_mov_b32 v1, s19
	flat_load_b64 v[10:11], v[0:1] offset:8
.LBB56_4:
	s_waitcnt vmcnt(1)
	v_cmp_eq_f64_e32 vcc_lo, 0, v[4:5]
	v_cmp_eq_f64_e64 s0, 0, v[6:7]
	s_delay_alu instid0(VALU_DEP_1)
	s_and_b32 s8, vcc_lo, s0
	s_mov_b32 s0, -1
	s_and_saveexec_b32 s1, s8
	s_cbranch_execz .LBB56_6
; %bb.5:
	s_waitcnt vmcnt(0) lgkmcnt(0)
	v_cmp_neq_f64_e32 vcc_lo, 1.0, v[8:9]
	v_cmp_neq_f64_e64 s0, 0, v[10:11]
	s_delay_alu instid0(VALU_DEP_1) | instskip(NEXT) | instid1(SALU_CYCLE_1)
	s_or_b32 s0, vcc_lo, s0
	s_or_not1_b32 s0, s0, exec_lo
.LBB56_6:
	s_or_b32 exec_lo, exec_lo, s1
	s_and_saveexec_b32 s1, s0
	s_cbranch_execz .LBB56_41
; %bb.7:
	v_lshrrev_b32_e32 v22, 3, v14
	v_mov_b32_e32 v13, 0
	s_delay_alu instid0(VALU_DEP_2) | instskip(NEXT) | instid1(VALU_DEP_1)
	v_lshl_or_b32 v12, s15, 6, v22
	v_cmp_gt_i64_e32 vcc_lo, s[6:7], v[12:13]
	s_and_b32 exec_lo, exec_lo, vcc_lo
	s_cbranch_execz .LBB56_41
; %bb.8:
	s_clause 0x1
	s_load_b64 s[8:9], s[2:3], 0x10
	s_load_b64 s[6:7], s[2:3], 0x78
	s_mov_b32 s10, 0
	s_waitcnt lgkmcnt(0)
	s_mov_b32 s11, s9
	s_delay_alu instid0(SALU_CYCLE_1)
	s_cmp_lg_u64 s[10:11], 0
	s_cbranch_scc0 .LBB56_16
; %bb.9:
	s_ashr_i32 s0, s9, 31
	s_delay_alu instid0(SALU_CYCLE_1) | instskip(SKIP_2) | instid1(SALU_CYCLE_1)
	s_add_u32 s14, s8, s0
	s_mov_b32 s1, s0
	s_addc_u32 s15, s9, s0
	s_xor_b64 s[14:15], s[14:15], s[0:1]
	s_delay_alu instid0(SALU_CYCLE_1) | instskip(SKIP_3) | instid1(VALU_DEP_1)
	v_cvt_f32_u32_e32 v0, s14
	v_cvt_f32_u32_e32 v1, s15
	s_sub_u32 s0, 0, s14
	s_subb_u32 s1, 0, s15
	v_fmamk_f32 v0, v1, 0x4f800000, v0
	s_delay_alu instid0(VALU_DEP_1) | instskip(SKIP_2) | instid1(VALU_DEP_1)
	v_rcp_f32_e32 v0, v0
	s_waitcnt_depctr 0xfff
	v_mul_f32_e32 v0, 0x5f7ffffc, v0
	v_mul_f32_e32 v1, 0x2f800000, v0
	s_delay_alu instid0(VALU_DEP_1) | instskip(NEXT) | instid1(VALU_DEP_1)
	v_trunc_f32_e32 v1, v1
	v_fmamk_f32 v0, v1, 0xcf800000, v0
	v_cvt_u32_f32_e32 v1, v1
	s_delay_alu instid0(VALU_DEP_2) | instskip(NEXT) | instid1(VALU_DEP_2)
	v_cvt_u32_f32_e32 v0, v0
	v_mul_lo_u32 v2, s0, v1
	s_delay_alu instid0(VALU_DEP_2) | instskip(SKIP_1) | instid1(VALU_DEP_2)
	v_mul_hi_u32 v3, s0, v0
	v_mul_lo_u32 v15, s1, v0
	v_add_nc_u32_e32 v2, v3, v2
	v_mul_lo_u32 v3, s0, v0
	s_delay_alu instid0(VALU_DEP_2) | instskip(NEXT) | instid1(VALU_DEP_2)
	v_add_nc_u32_e32 v2, v2, v15
	v_mul_hi_u32 v15, v0, v3
	s_delay_alu instid0(VALU_DEP_2)
	v_mul_lo_u32 v16, v0, v2
	v_mul_hi_u32 v17, v0, v2
	v_mul_hi_u32 v18, v1, v3
	v_mul_lo_u32 v3, v1, v3
	v_mul_hi_u32 v19, v1, v2
	v_mul_lo_u32 v2, v1, v2
	v_add_co_u32 v15, vcc_lo, v15, v16
	v_add_co_ci_u32_e32 v16, vcc_lo, 0, v17, vcc_lo
	s_delay_alu instid0(VALU_DEP_2) | instskip(NEXT) | instid1(VALU_DEP_2)
	v_add_co_u32 v3, vcc_lo, v15, v3
	v_add_co_ci_u32_e32 v3, vcc_lo, v16, v18, vcc_lo
	v_add_co_ci_u32_e32 v15, vcc_lo, 0, v19, vcc_lo
	s_delay_alu instid0(VALU_DEP_2) | instskip(NEXT) | instid1(VALU_DEP_2)
	v_add_co_u32 v2, vcc_lo, v3, v2
	v_add_co_ci_u32_e32 v3, vcc_lo, 0, v15, vcc_lo
	s_delay_alu instid0(VALU_DEP_2) | instskip(NEXT) | instid1(VALU_DEP_2)
	v_add_co_u32 v0, vcc_lo, v0, v2
	v_add_co_ci_u32_e32 v1, vcc_lo, v1, v3, vcc_lo
	s_delay_alu instid0(VALU_DEP_2) | instskip(SKIP_1) | instid1(VALU_DEP_3)
	v_mul_hi_u32 v2, s0, v0
	v_mul_lo_u32 v15, s1, v0
	v_mul_lo_u32 v3, s0, v1
	s_delay_alu instid0(VALU_DEP_1) | instskip(SKIP_1) | instid1(VALU_DEP_2)
	v_add_nc_u32_e32 v2, v2, v3
	v_mul_lo_u32 v3, s0, v0
	v_add_nc_u32_e32 v2, v2, v15
	s_delay_alu instid0(VALU_DEP_2) | instskip(NEXT) | instid1(VALU_DEP_2)
	v_mul_hi_u32 v15, v0, v3
	v_mul_lo_u32 v16, v0, v2
	v_mul_hi_u32 v17, v0, v2
	v_mul_hi_u32 v18, v1, v3
	v_mul_lo_u32 v3, v1, v3
	v_mul_hi_u32 v19, v1, v2
	v_mul_lo_u32 v2, v1, v2
	v_add_co_u32 v15, vcc_lo, v15, v16
	v_add_co_ci_u32_e32 v16, vcc_lo, 0, v17, vcc_lo
	s_delay_alu instid0(VALU_DEP_2) | instskip(NEXT) | instid1(VALU_DEP_2)
	v_add_co_u32 v3, vcc_lo, v15, v3
	v_add_co_ci_u32_e32 v3, vcc_lo, v16, v18, vcc_lo
	v_add_co_ci_u32_e32 v15, vcc_lo, 0, v19, vcc_lo
	s_delay_alu instid0(VALU_DEP_2) | instskip(NEXT) | instid1(VALU_DEP_2)
	v_add_co_u32 v2, vcc_lo, v3, v2
	v_add_co_ci_u32_e32 v3, vcc_lo, 0, v15, vcc_lo
	s_delay_alu instid0(VALU_DEP_2) | instskip(NEXT) | instid1(VALU_DEP_2)
	v_add_co_u32 v15, vcc_lo, v0, v2
	v_add_co_ci_u32_e32 v17, vcc_lo, v1, v3, vcc_lo
	s_delay_alu instid0(VALU_DEP_2) | instskip(SKIP_1) | instid1(VALU_DEP_3)
	v_mul_hi_u32 v18, v12, v15
	v_mad_u64_u32 v[2:3], null, 0, v15, 0
	v_mad_u64_u32 v[0:1], null, v12, v17, 0
	;; [unrolled: 1-line block ×3, first 2 shown]
	s_delay_alu instid0(VALU_DEP_2) | instskip(NEXT) | instid1(VALU_DEP_3)
	v_add_co_u32 v0, vcc_lo, v18, v0
	v_add_co_ci_u32_e32 v1, vcc_lo, 0, v1, vcc_lo
	s_delay_alu instid0(VALU_DEP_2) | instskip(NEXT) | instid1(VALU_DEP_2)
	v_add_co_u32 v0, vcc_lo, v0, v2
	v_add_co_ci_u32_e32 v0, vcc_lo, v1, v3, vcc_lo
	v_add_co_ci_u32_e32 v1, vcc_lo, 0, v16, vcc_lo
	s_delay_alu instid0(VALU_DEP_2) | instskip(NEXT) | instid1(VALU_DEP_2)
	v_add_co_u32 v2, vcc_lo, v0, v15
	v_add_co_ci_u32_e32 v3, vcc_lo, 0, v1, vcc_lo
	s_delay_alu instid0(VALU_DEP_2) | instskip(SKIP_1) | instid1(VALU_DEP_3)
	v_mul_lo_u32 v15, s15, v2
	v_mad_u64_u32 v[0:1], null, s14, v2, 0
	v_mul_lo_u32 v2, s14, v3
	s_delay_alu instid0(VALU_DEP_2) | instskip(NEXT) | instid1(VALU_DEP_2)
	v_sub_co_u32 v0, vcc_lo, v12, v0
	v_add3_u32 v1, v1, v2, v15
	s_delay_alu instid0(VALU_DEP_1) | instskip(NEXT) | instid1(VALU_DEP_1)
	v_sub_nc_u32_e32 v2, 0, v1
	v_subrev_co_ci_u32_e64 v2, s0, s15, v2, vcc_lo
	v_sub_co_ci_u32_e32 v1, vcc_lo, 0, v1, vcc_lo
	v_sub_co_u32 v3, vcc_lo, v0, s14
	s_delay_alu instid0(VALU_DEP_1) | instskip(SKIP_3) | instid1(VALU_DEP_3)
	v_subrev_co_ci_u32_e64 v15, s0, 0, v2, vcc_lo
	v_cmp_le_u32_e64 s0, s14, v0
	v_subrev_co_ci_u32_e32 v2, vcc_lo, s15, v2, vcc_lo
	v_cmp_le_u32_e32 vcc_lo, s15, v1
	v_cndmask_b32_e64 v16, 0, -1, s0
	v_cmp_le_u32_e64 s0, s14, v3
	v_cndmask_b32_e64 v19, 0, -1, vcc_lo
	v_cmp_eq_u32_e32 vcc_lo, s15, v15
	s_delay_alu instid0(VALU_DEP_3) | instskip(SKIP_1) | instid1(VALU_DEP_1)
	v_cndmask_b32_e64 v17, 0, -1, s0
	v_cmp_le_u32_e64 s0, s15, v15
	v_cndmask_b32_e64 v18, 0, -1, s0
	v_cmp_eq_u32_e64 s0, s15, v1
	s_delay_alu instid0(VALU_DEP_2) | instskip(SKIP_2) | instid1(VALU_DEP_3)
	v_cndmask_b32_e32 v17, v18, v17, vcc_lo
	v_sub_co_u32 v18, vcc_lo, v3, s14
	v_subrev_co_ci_u32_e32 v2, vcc_lo, 0, v2, vcc_lo
	v_cmp_ne_u32_e32 vcc_lo, 0, v17
	v_cndmask_b32_e64 v16, v19, v16, s0
	s_delay_alu instid0(VALU_DEP_3) | instskip(SKIP_1) | instid1(VALU_DEP_3)
	v_cndmask_b32_e32 v2, v15, v2, vcc_lo
	v_cndmask_b32_e32 v3, v3, v18, vcc_lo
	v_cmp_ne_u32_e32 vcc_lo, 0, v16
	s_delay_alu instid0(VALU_DEP_2) | instskip(NEXT) | instid1(VALU_DEP_1)
	v_dual_cndmask_b32 v1, v1, v2 :: v_dual_cndmask_b32 v0, v0, v3
	v_sub_co_u32 v2, vcc_lo, v0, 0
	s_delay_alu instid0(VALU_DEP_2)
	v_subrev_co_ci_u32_e32 v3, vcc_lo, 0, v1, vcc_lo
	s_and_not1_b32 vcc_lo, exec_lo, s10
	s_cbranch_vccnz .LBB56_11
.LBB56_10:
	v_cvt_f32_u32_e32 v0, s8
	s_sub_i32 s0, 0, s8
	v_mov_b32_e32 v3, 0
	s_delay_alu instid0(VALU_DEP_2) | instskip(SKIP_2) | instid1(VALU_DEP_1)
	v_rcp_iflag_f32_e32 v0, v0
	s_waitcnt_depctr 0xfff
	v_mul_f32_e32 v0, 0x4f7ffffe, v0
	v_cvt_u32_f32_e32 v0, v0
	s_delay_alu instid0(VALU_DEP_1) | instskip(NEXT) | instid1(VALU_DEP_1)
	v_mul_lo_u32 v1, s0, v0
	v_mul_hi_u32 v1, v0, v1
	s_delay_alu instid0(VALU_DEP_1) | instskip(NEXT) | instid1(VALU_DEP_1)
	v_add_nc_u32_e32 v0, v0, v1
	v_mul_hi_u32 v0, v12, v0
	s_delay_alu instid0(VALU_DEP_1) | instskip(NEXT) | instid1(VALU_DEP_1)
	v_mul_lo_u32 v0, v0, s8
	v_sub_nc_u32_e32 v0, v12, v0
	s_delay_alu instid0(VALU_DEP_1) | instskip(SKIP_1) | instid1(VALU_DEP_2)
	v_subrev_nc_u32_e32 v1, s8, v0
	v_cmp_le_u32_e32 vcc_lo, s8, v0
	v_cndmask_b32_e32 v0, v0, v1, vcc_lo
	s_delay_alu instid0(VALU_DEP_1) | instskip(SKIP_1) | instid1(VALU_DEP_2)
	v_subrev_nc_u32_e32 v1, s8, v0
	v_cmp_le_u32_e32 vcc_lo, s8, v0
	v_cndmask_b32_e32 v2, v0, v1, vcc_lo
.LBB56_11:
	v_lshlrev_b64 v[0:1], 3, v[12:13]
	s_delay_alu instid0(VALU_DEP_1) | instskip(NEXT) | instid1(VALU_DEP_2)
	v_add_co_u32 v0, vcc_lo, s6, v0
	v_add_co_ci_u32_e32 v1, vcc_lo, s7, v1, vcc_lo
	global_load_b64 v[0:1], v[0:1], off
	s_waitcnt vmcnt(0)
	v_sub_co_u32 v0, vcc_lo, v0, s12
	v_subrev_co_ci_u32_e32 v1, vcc_lo, 0, v1, vcc_lo
	s_delay_alu instid0(VALU_DEP_1)
	v_cmp_lt_i64_e32 vcc_lo, -1, v[0:1]
	s_and_b32 exec_lo, exec_lo, vcc_lo
	s_cbranch_execz .LBB56_41
; %bb.12:
	s_clause 0x1
	s_load_b128 s[8:11], s[2:3], 0x0
	s_load_b64 s[0:1], s[2:3], 0x48
	s_waitcnt lgkmcnt(0)
	s_cmp_eq_u32 s10, 1
	s_cselect_b32 s12, -1, 0
	s_cmpk_eq_i32 s8, 0x6f
	s_cselect_b32 s13, -1, 0
	s_cmpk_lg_i32 s8, 0x6f
	s_cselect_b32 s6, -1, 0
	s_cmp_lg_u32 s10, 1
	s_cbranch_scc0 .LBB56_17
; %bb.13:
	v_dual_mov_b32 v17, v3 :: v_dual_mov_b32 v16, v2
	s_and_not1_b32 vcc_lo, exec_lo, s13
	s_cbranch_vccnz .LBB56_15
; %bb.14:
	v_mul_lo_u32 v15, v3, s0
	v_mul_lo_u32 v18, v2, s1
	v_mad_u64_u32 v[16:17], null, v2, s0, 0
	s_delay_alu instid0(VALU_DEP_1)
	v_add3_u32 v17, v17, v18, v15
.LBB56_15:
	s_cbranch_execz .LBB56_18
	s_branch .LBB56_21
.LBB56_16:
                                        ; implicit-def: $vgpr2_vgpr3
	s_branch .LBB56_10
.LBB56_17:
                                        ; implicit-def: $vgpr16_vgpr17
.LBB56_18:
	s_and_not1_b32 vcc_lo, exec_lo, s6
	s_cbranch_vccnz .LBB56_20
; %bb.19:
	v_mul_lo_u32 v3, v3, s0
	v_mul_lo_u32 v17, v2, s1
	v_mad_u64_u32 v[15:16], null, v2, s0, 0
	s_delay_alu instid0(VALU_DEP_1) | instskip(NEXT) | instid1(VALU_DEP_1)
	v_add3_u32 v16, v16, v17, v3
	v_dual_mov_b32 v2, v15 :: v_dual_mov_b32 v3, v16
.LBB56_20:
	s_delay_alu instid0(VALU_DEP_1)
	v_dual_mov_b32 v17, v3 :: v_dual_mov_b32 v16, v2
.LBB56_21:
	s_cmp_eq_u32 s11, 1
	s_cselect_b32 s8, -1, 0
	s_cmpk_eq_i32 s9, 0x6f
	s_cselect_b32 s14, -1, 0
	s_cmpk_lg_i32 s9, 0x6f
	s_cselect_b32 s6, -1, 0
	s_cmp_lg_u32 s11, 1
	s_cbranch_scc0 .LBB56_25
; %bb.22:
	v_dual_mov_b32 v19, v1 :: v_dual_mov_b32 v18, v0
	s_and_not1_b32 vcc_lo, exec_lo, s6
	s_cbranch_vccnz .LBB56_24
; %bb.23:
	v_mul_lo_u32 v2, v1, s16
	v_mul_lo_u32 v3, v0, s17
	v_mad_u64_u32 v[18:19], null, v0, s16, 0
	s_delay_alu instid0(VALU_DEP_1)
	v_add3_u32 v19, v19, v3, v2
.LBB56_24:
	s_cbranch_execz .LBB56_26
	s_branch .LBB56_29
.LBB56_25:
                                        ; implicit-def: $vgpr18_vgpr19
.LBB56_26:
	s_and_not1_b32 vcc_lo, exec_lo, s14
	s_cbranch_vccnz .LBB56_28
; %bb.27:
	v_mul_lo_u32 v3, v1, s16
	v_mul_lo_u32 v15, v0, s17
	v_mad_u64_u32 v[1:2], null, v0, s16, 0
	s_delay_alu instid0(VALU_DEP_1) | instskip(NEXT) | instid1(VALU_DEP_2)
	v_add3_u32 v2, v2, v15, v3
	v_mov_b32_e32 v0, v1
	s_delay_alu instid0(VALU_DEP_2)
	v_mov_b32_e32 v1, v2
.LBB56_28:
	s_delay_alu instid0(VALU_DEP_1)
	v_dual_mov_b32 v19, v1 :: v_dual_mov_b32 v18, v0
.LBB56_29:
	s_load_b64 s[6:7], s[2:3], 0x70
	v_mov_b32_e32 v2, 0
	v_dual_mov_b32 v3, 0 :: v_dual_and_b32 v14, 7, v14
	s_delay_alu instid0(VALU_DEP_2) | instskip(SKIP_1) | instid1(VALU_DEP_2)
	v_dual_mov_b32 v15, 0 :: v_dual_mov_b32 v0, v2
	s_mov_b32 s10, exec_lo
	v_mov_b32_e32 v1, v3
	s_delay_alu instid0(VALU_DEP_2)
	v_cmpx_gt_i64_e64 s[4:5], v[14:15]
	s_cbranch_execz .LBB56_33
; %bb.30:
	s_xor_b32 s9, s13, s12
	v_lshlrev_b64 v[16:17], 4, v[16:17]
	s_and_b32 s9, s9, exec_lo
	s_cselect_b32 s13, 0, s1
	s_cselect_b32 s12, 1, s0
	s_xor_b32 s0, s14, s8
	v_mad_u64_u32 v[0:1], null, s12, v14, 0
	s_and_b32 s0, s0, exec_lo
	s_cselect_b32 s8, s16, 1
	s_cselect_b32 s9, s17, 0
	v_mad_u64_u32 v[20:21], null, s8, v14, 0
	s_clause 0x1
	s_load_b64 s[0:1], s[2:3], 0x40
	s_load_b64 s[2:3], s[2:3], 0x50
	v_lshlrev_b64 v[18:19], 4, v[18:19]
	s_delay_alu instid0(VALU_DEP_2) | instskip(NEXT) | instid1(VALU_DEP_1)
	v_mov_b32_e32 v2, v21
	v_mad_u64_u32 v[23:24], null, s13, v14, v[1:2]
	s_delay_alu instid0(VALU_DEP_1) | instskip(SKIP_3) | instid1(VALU_DEP_3)
	v_mov_b32_e32 v1, v23
	v_mad_u64_u32 v[24:25], null, s9, v14, v[2:3]
	s_lshl_b64 s[8:9], s[8:9], 7
	v_mov_b32_e32 v2, 0
	v_lshlrev_b64 v[0:1], 4, v[0:1]
	v_mov_b32_e32 v3, 0
	s_delay_alu instid0(VALU_DEP_4) | instskip(NEXT) | instid1(VALU_DEP_3)
	v_mov_b32_e32 v21, v24
	v_add_co_u32 v0, vcc_lo, v0, v16
	s_delay_alu instid0(VALU_DEP_4) | instskip(NEXT) | instid1(VALU_DEP_3)
	v_add_co_ci_u32_e32 v1, vcc_lo, v1, v17, vcc_lo
	v_lshlrev_b64 v[20:21], 4, v[20:21]
	s_delay_alu instid0(VALU_DEP_1) | instskip(NEXT) | instid1(VALU_DEP_2)
	v_add_co_u32 v16, vcc_lo, v20, v18
	v_add_co_ci_u32_e32 v17, vcc_lo, v21, v19, vcc_lo
	s_waitcnt lgkmcnt(0)
	v_add_co_u32 v0, vcc_lo, v0, s0
	v_add_co_ci_u32_e32 v1, vcc_lo, s1, v1, vcc_lo
	v_add_co_u32 v18, vcc_lo, v16, s2
	v_add_co_ci_u32_e32 v19, vcc_lo, s3, v17, vcc_lo
	s_delay_alu instid0(VALU_DEP_4) | instskip(NEXT) | instid1(VALU_DEP_4)
	v_add_co_u32 v16, vcc_lo, v0, 8
	v_add_co_ci_u32_e32 v17, vcc_lo, 0, v1, vcc_lo
	s_delay_alu instid0(VALU_DEP_4)
	v_add_co_u32 v18, vcc_lo, v18, 8
	v_dual_mov_b32 v21, v15 :: v_dual_mov_b32 v20, v14
	v_mov_b32_e32 v0, v2
	v_add_co_ci_u32_e32 v19, vcc_lo, 0, v19, vcc_lo
	v_mov_b32_e32 v1, v3
	s_mov_b32 s1, 0
	s_lshl_b64 s[2:3], s[12:13], 7
	.p2align	6
.LBB56_31:                              ; =>This Inner Loop Header: Depth=1
	global_load_b128 v[23:26], v[18:19], off offset:-8
	global_load_b128 v[27:30], v[16:17], off offset:-8
	v_add_co_u32 v20, vcc_lo, v20, 8
	v_add_co_ci_u32_e32 v21, vcc_lo, 0, v21, vcc_lo
	v_add_co_u32 v16, vcc_lo, v16, s2
	v_add_co_ci_u32_e32 v17, vcc_lo, s3, v17, vcc_lo
	s_delay_alu instid0(VALU_DEP_3) | instskip(SKIP_1) | instid1(VALU_DEP_1)
	v_cmp_le_i64_e32 vcc_lo, s[4:5], v[20:21]
	v_add_co_u32 v18, s0, v18, s8
	v_add_co_ci_u32_e64 v19, s0, s9, v19, s0
	s_or_b32 s1, vcc_lo, s1
	s_waitcnt vmcnt(0)
	v_mul_f64 v[31:32], v[25:26], -v[29:30]
	v_mul_f64 v[25:26], v[25:26], v[27:28]
	s_delay_alu instid0(VALU_DEP_2) | instskip(NEXT) | instid1(VALU_DEP_2)
	v_fma_f64 v[27:28], v[27:28], v[23:24], v[31:32]
	v_fma_f64 v[23:24], v[29:30], v[23:24], v[25:26]
	s_delay_alu instid0(VALU_DEP_2) | instskip(NEXT) | instid1(VALU_DEP_2)
	v_add_f64 v[0:1], v[0:1], v[27:28]
	v_add_f64 v[2:3], v[2:3], v[23:24]
	s_and_not1_b32 exec_lo, exec_lo, s1
	s_cbranch_execnz .LBB56_31
; %bb.32:
	s_or_b32 exec_lo, exec_lo, s1
.LBB56_33:
	s_delay_alu instid0(SALU_CYCLE_1) | instskip(SKIP_2) | instid1(VALU_DEP_1)
	s_or_b32 exec_lo, exec_lo, s10
	v_lshlrev_b32_e32 v15, 4, v14
	s_mov_b32 s0, exec_lo
	v_lshl_or_b32 v15, v22, 7, v15
	ds_store_b128 v15, v[0:3]
	s_waitcnt lgkmcnt(0)
	s_barrier
	buffer_gl0_inv
	v_cmpx_gt_u32_e32 4, v14
	s_cbranch_execz .LBB56_35
; %bb.34:
	ds_load_b128 v[0:3], v15 offset:64
	ds_load_b128 v[16:19], v15
	s_waitcnt lgkmcnt(0)
	v_add_f64 v[0:1], v[0:1], v[16:17]
	v_add_f64 v[2:3], v[2:3], v[18:19]
	ds_store_b128 v15, v[0:3]
.LBB56_35:
	s_or_b32 exec_lo, exec_lo, s0
	s_delay_alu instid0(SALU_CYCLE_1)
	s_mov_b32 s0, exec_lo
	s_waitcnt lgkmcnt(0)
	s_barrier
	buffer_gl0_inv
	v_cmpx_gt_u32_e32 2, v14
	s_cbranch_execz .LBB56_37
; %bb.36:
	ds_load_b128 v[0:3], v15
	ds_load_b128 v[16:19], v15 offset:32
	s_waitcnt lgkmcnt(0)
	v_add_f64 v[0:1], v[16:17], v[0:1]
	v_add_f64 v[2:3], v[18:19], v[2:3]
	ds_store_b128 v15, v[0:3]
.LBB56_37:
	s_or_b32 exec_lo, exec_lo, s0
	v_cmp_eq_u32_e32 vcc_lo, 0, v14
	v_lshlrev_b32_e32 v0, 7, v22
	s_waitcnt lgkmcnt(0)
	s_barrier
	buffer_gl0_inv
	s_and_saveexec_b32 s0, vcc_lo
	s_cbranch_execz .LBB56_39
; %bb.38:
	ds_load_b128 v[16:19], v0 offset:16
	ds_load_b128 v[20:23], v15
	s_waitcnt lgkmcnt(0)
	v_add_f64 v[16:17], v[16:17], v[20:21]
	v_add_f64 v[18:19], v[18:19], v[22:23]
	ds_store_b128 v15, v[16:19]
.LBB56_39:
	s_or_b32 exec_lo, exec_lo, s0
	s_waitcnt lgkmcnt(0)
	s_barrier
	buffer_gl0_inv
	s_and_b32 exec_lo, exec_lo, vcc_lo
	s_cbranch_execz .LBB56_41
; %bb.40:
	v_lshlrev_b64 v[1:2], 4, v[12:13]
	s_delay_alu instid0(VALU_DEP_1) | instskip(NEXT) | instid1(VALU_DEP_2)
	v_add_co_u32 v16, vcc_lo, s6, v1
	v_add_co_ci_u32_e32 v17, vcc_lo, s7, v2, vcc_lo
	ds_load_b128 v[0:3], v0
	global_load_b128 v[12:15], v[16:17], off
	s_waitcnt lgkmcnt(0)
	v_mul_f64 v[18:19], v[2:3], -v[6:7]
	v_mul_f64 v[2:3], v[4:5], v[2:3]
	s_delay_alu instid0(VALU_DEP_2) | instskip(NEXT) | instid1(VALU_DEP_2)
	v_fma_f64 v[4:5], v[4:5], v[0:1], v[18:19]
	v_fma_f64 v[2:3], v[6:7], v[0:1], v[2:3]
	s_waitcnt vmcnt(0)
	v_mul_f64 v[20:21], v[10:11], -v[14:15]
	v_mul_f64 v[10:11], v[10:11], v[12:13]
	s_delay_alu instid0(VALU_DEP_2) | instskip(NEXT) | instid1(VALU_DEP_2)
	v_fma_f64 v[0:1], v[12:13], v[8:9], v[20:21]
	v_fma_f64 v[6:7], v[14:15], v[8:9], v[10:11]
	s_delay_alu instid0(VALU_DEP_2) | instskip(NEXT) | instid1(VALU_DEP_2)
	v_add_f64 v[0:1], v[0:1], v[4:5]
	v_add_f64 v[2:3], v[6:7], v[2:3]
	global_store_b128 v[16:17], v[0:3], off
.LBB56_41:
	s_nop 0
	s_sendmsg sendmsg(MSG_DEALLOC_VGPRS)
	s_endpgm
	.section	.rodata,"a",@progbits
	.p2align	6, 0x0
	.amdhsa_kernel _ZN9rocsparseL16sddmm_ell_kernelILi512ELi8E21rocsparse_complex_numIdEllS2_S2_S2_EEv20rocsparse_operation_S3_16rocsparse_order_S4_T3_S5_S5_T2_NS_24const_host_device_scalarIT1_EEPKT4_lPKT5_lS9_PT6_PKS5_21rocsparse_index_base_b
		.amdhsa_group_segment_fixed_size 16384
		.amdhsa_private_segment_fixed_size 0
		.amdhsa_kernarg_size 136
		.amdhsa_user_sgpr_count 15
		.amdhsa_user_sgpr_dispatch_ptr 1
		.amdhsa_user_sgpr_queue_ptr 0
		.amdhsa_user_sgpr_kernarg_segment_ptr 1
		.amdhsa_user_sgpr_dispatch_id 0
		.amdhsa_user_sgpr_private_segment_size 0
		.amdhsa_wavefront_size32 1
		.amdhsa_uses_dynamic_stack 0
		.amdhsa_enable_private_segment 0
		.amdhsa_system_sgpr_workgroup_id_x 1
		.amdhsa_system_sgpr_workgroup_id_y 0
		.amdhsa_system_sgpr_workgroup_id_z 0
		.amdhsa_system_sgpr_workgroup_info 0
		.amdhsa_system_vgpr_workitem_id 2
		.amdhsa_next_free_vgpr 33
		.amdhsa_next_free_sgpr 22
		.amdhsa_reserve_vcc 1
		.amdhsa_float_round_mode_32 0
		.amdhsa_float_round_mode_16_64 0
		.amdhsa_float_denorm_mode_32 3
		.amdhsa_float_denorm_mode_16_64 3
		.amdhsa_dx10_clamp 1
		.amdhsa_ieee_mode 1
		.amdhsa_fp16_overflow 0
		.amdhsa_workgroup_processor_mode 1
		.amdhsa_memory_ordered 1
		.amdhsa_forward_progress 0
		.amdhsa_shared_vgpr_count 0
		.amdhsa_exception_fp_ieee_invalid_op 0
		.amdhsa_exception_fp_denorm_src 0
		.amdhsa_exception_fp_ieee_div_zero 0
		.amdhsa_exception_fp_ieee_overflow 0
		.amdhsa_exception_fp_ieee_underflow 0
		.amdhsa_exception_fp_ieee_inexact 0
		.amdhsa_exception_int_div_zero 0
	.end_amdhsa_kernel
	.section	.text._ZN9rocsparseL16sddmm_ell_kernelILi512ELi8E21rocsparse_complex_numIdEllS2_S2_S2_EEv20rocsparse_operation_S3_16rocsparse_order_S4_T3_S5_S5_T2_NS_24const_host_device_scalarIT1_EEPKT4_lPKT5_lS9_PT6_PKS5_21rocsparse_index_base_b,"axG",@progbits,_ZN9rocsparseL16sddmm_ell_kernelILi512ELi8E21rocsparse_complex_numIdEllS2_S2_S2_EEv20rocsparse_operation_S3_16rocsparse_order_S4_T3_S5_S5_T2_NS_24const_host_device_scalarIT1_EEPKT4_lPKT5_lS9_PT6_PKS5_21rocsparse_index_base_b,comdat
.Lfunc_end56:
	.size	_ZN9rocsparseL16sddmm_ell_kernelILi512ELi8E21rocsparse_complex_numIdEllS2_S2_S2_EEv20rocsparse_operation_S3_16rocsparse_order_S4_T3_S5_S5_T2_NS_24const_host_device_scalarIT1_EEPKT4_lPKT5_lS9_PT6_PKS5_21rocsparse_index_base_b, .Lfunc_end56-_ZN9rocsparseL16sddmm_ell_kernelILi512ELi8E21rocsparse_complex_numIdEllS2_S2_S2_EEv20rocsparse_operation_S3_16rocsparse_order_S4_T3_S5_S5_T2_NS_24const_host_device_scalarIT1_EEPKT4_lPKT5_lS9_PT6_PKS5_21rocsparse_index_base_b
                                        ; -- End function
	.section	.AMDGPU.csdata,"",@progbits
; Kernel info:
; codeLenInByte = 2676
; NumSgprs: 24
; NumVgprs: 33
; ScratchSize: 0
; MemoryBound: 0
; FloatMode: 240
; IeeeMode: 1
; LDSByteSize: 16384 bytes/workgroup (compile time only)
; SGPRBlocks: 2
; VGPRBlocks: 4
; NumSGPRsForWavesPerEU: 24
; NumVGPRsForWavesPerEU: 33
; Occupancy: 16
; WaveLimiterHint : 1
; COMPUTE_PGM_RSRC2:SCRATCH_EN: 0
; COMPUTE_PGM_RSRC2:USER_SGPR: 15
; COMPUTE_PGM_RSRC2:TRAP_HANDLER: 0
; COMPUTE_PGM_RSRC2:TGID_X_EN: 1
; COMPUTE_PGM_RSRC2:TGID_Y_EN: 0
; COMPUTE_PGM_RSRC2:TGID_Z_EN: 0
; COMPUTE_PGM_RSRC2:TIDIG_COMP_CNT: 2
	.section	.text._ZN9rocsparseL16sddmm_ell_kernelILi512ELi4E21rocsparse_complex_numIdEllS2_S2_S2_EEv20rocsparse_operation_S3_16rocsparse_order_S4_T3_S5_S5_T2_NS_24const_host_device_scalarIT1_EEPKT4_lPKT5_lS9_PT6_PKS5_21rocsparse_index_base_b,"axG",@progbits,_ZN9rocsparseL16sddmm_ell_kernelILi512ELi4E21rocsparse_complex_numIdEllS2_S2_S2_EEv20rocsparse_operation_S3_16rocsparse_order_S4_T3_S5_S5_T2_NS_24const_host_device_scalarIT1_EEPKT4_lPKT5_lS9_PT6_PKS5_21rocsparse_index_base_b,comdat
	.globl	_ZN9rocsparseL16sddmm_ell_kernelILi512ELi4E21rocsparse_complex_numIdEllS2_S2_S2_EEv20rocsparse_operation_S3_16rocsparse_order_S4_T3_S5_S5_T2_NS_24const_host_device_scalarIT1_EEPKT4_lPKT5_lS9_PT6_PKS5_21rocsparse_index_base_b ; -- Begin function _ZN9rocsparseL16sddmm_ell_kernelILi512ELi4E21rocsparse_complex_numIdEllS2_S2_S2_EEv20rocsparse_operation_S3_16rocsparse_order_S4_T3_S5_S5_T2_NS_24const_host_device_scalarIT1_EEPKT4_lPKT5_lS9_PT6_PKS5_21rocsparse_index_base_b
	.p2align	8
	.type	_ZN9rocsparseL16sddmm_ell_kernelILi512ELi4E21rocsparse_complex_numIdEllS2_S2_S2_EEv20rocsparse_operation_S3_16rocsparse_order_S4_T3_S5_S5_T2_NS_24const_host_device_scalarIT1_EEPKT4_lPKT5_lS9_PT6_PKS5_21rocsparse_index_base_b,@function
_ZN9rocsparseL16sddmm_ell_kernelILi512ELi4E21rocsparse_complex_numIdEllS2_S2_S2_EEv20rocsparse_operation_S3_16rocsparse_order_S4_T3_S5_S5_T2_NS_24const_host_device_scalarIT1_EEPKT4_lPKT5_lS9_PT6_PKS5_21rocsparse_index_base_b: ; @_ZN9rocsparseL16sddmm_ell_kernelILi512ELi4E21rocsparse_complex_numIdEllS2_S2_S2_EEv20rocsparse_operation_S3_16rocsparse_order_S4_T3_S5_S5_T2_NS_24const_host_device_scalarIT1_EEPKT4_lPKT5_lS9_PT6_PKS5_21rocsparse_index_base_b
; %bb.0:
	s_clause 0x1
	s_load_b64 s[12:13], s[2:3], 0x80
	s_load_b256 s[4:11], s[2:3], 0x20
	s_load_b64 s[20:21], s[0:1], 0x4
	s_mov_b64 s[0:1], src_shared_base
	v_and_b32_e32 v14, 0x3ff, v0
	s_load_b128 s[16:19], s[2:3], 0x58
	v_bfe_u32 v2, v0, 10, 10
	v_bfe_u32 v0, v0, 20, 10
	s_waitcnt lgkmcnt(0)
	s_bitcmp1_b32 s13, 0
	s_cselect_b32 s0, -1, 0
	s_delay_alu instid0(SALU_CYCLE_1) | instskip(SKIP_4) | instid1(SALU_CYCLE_1)
	s_and_b32 vcc_lo, s0, exec_lo
	s_cselect_b32 s13, s1, s9
	s_lshr_b32 s14, s20, 16
	v_mov_b32_e32 v5, s13
	s_mul_i32 s14, s14, s21
	v_mul_lo_u32 v1, s14, v14
	s_delay_alu instid0(VALU_DEP_1) | instskip(SKIP_2) | instid1(VALU_DEP_2)
	v_mad_u32_u24 v1, v2, s21, v1
	s_load_b64 s[20:21], s[2:3], 0x68
	v_dual_mov_b32 v2, s18 :: v_dual_mov_b32 v3, s19
	v_add_lshl_u32 v6, v1, v0, 3
	v_dual_mov_b32 v0, s8 :: v_dual_mov_b32 v1, s9
	s_delay_alu instid0(VALU_DEP_2)
	v_add_nc_u32_e32 v4, 0x3000, v6
	ds_store_2addr_stride64_b64 v6, v[2:3], v[0:1] offset0:16 offset1:24
	v_add_nc_u32_e32 v0, 0x2000, v6
	v_mov_b32_e32 v6, s10
	v_cndmask_b32_e64 v4, s8, v4, s0
	v_mov_b32_e32 v7, s11
	s_xor_b32 s10, s0, -1
	flat_load_b64 v[4:5], v[4:5]
	s_cbranch_vccnz .LBB57_2
; %bb.1:
	v_dual_mov_b32 v1, s8 :: v_dual_mov_b32 v2, s9
	flat_load_b64 v[6:7], v[1:2] offset:8
.LBB57_2:
	s_and_b32 s8, s0, exec_lo
	s_cselect_b32 s1, s1, s19
	v_cndmask_b32_e64 v0, s18, v0, s0
	s_waitcnt lgkmcnt(0)
	v_dual_mov_b32 v1, s1 :: v_dual_mov_b32 v10, s20
	v_mov_b32_e32 v11, s21
	s_and_not1_b32 vcc_lo, exec_lo, s10
	flat_load_b64 v[8:9], v[0:1]
	s_cbranch_vccnz .LBB57_4
; %bb.3:
	v_dual_mov_b32 v0, s18 :: v_dual_mov_b32 v1, s19
	flat_load_b64 v[10:11], v[0:1] offset:8
.LBB57_4:
	s_waitcnt vmcnt(1)
	v_cmp_eq_f64_e32 vcc_lo, 0, v[4:5]
	v_cmp_eq_f64_e64 s0, 0, v[6:7]
	s_delay_alu instid0(VALU_DEP_1)
	s_and_b32 s8, vcc_lo, s0
	s_mov_b32 s0, -1
	s_and_saveexec_b32 s1, s8
	s_cbranch_execz .LBB57_6
; %bb.5:
	s_waitcnt vmcnt(0) lgkmcnt(0)
	v_cmp_neq_f64_e32 vcc_lo, 1.0, v[8:9]
	v_cmp_neq_f64_e64 s0, 0, v[10:11]
	s_delay_alu instid0(VALU_DEP_1) | instskip(NEXT) | instid1(SALU_CYCLE_1)
	s_or_b32 s0, vcc_lo, s0
	s_or_not1_b32 s0, s0, exec_lo
.LBB57_6:
	s_or_b32 exec_lo, exec_lo, s1
	s_and_saveexec_b32 s1, s0
	s_cbranch_execz .LBB57_39
; %bb.7:
	v_lshrrev_b32_e32 v22, 2, v14
	v_mov_b32_e32 v13, 0
	s_delay_alu instid0(VALU_DEP_2) | instskip(NEXT) | instid1(VALU_DEP_1)
	v_lshl_or_b32 v12, s15, 7, v22
	v_cmp_gt_i64_e32 vcc_lo, s[6:7], v[12:13]
	s_and_b32 exec_lo, exec_lo, vcc_lo
	s_cbranch_execz .LBB57_39
; %bb.8:
	s_clause 0x1
	s_load_b64 s[8:9], s[2:3], 0x10
	s_load_b64 s[6:7], s[2:3], 0x78
	s_mov_b32 s10, 0
	s_waitcnt lgkmcnt(0)
	s_mov_b32 s11, s9
	s_delay_alu instid0(SALU_CYCLE_1)
	s_cmp_lg_u64 s[10:11], 0
	s_cbranch_scc0 .LBB57_16
; %bb.9:
	s_ashr_i32 s0, s9, 31
	s_delay_alu instid0(SALU_CYCLE_1) | instskip(SKIP_2) | instid1(SALU_CYCLE_1)
	s_add_u32 s14, s8, s0
	s_mov_b32 s1, s0
	s_addc_u32 s15, s9, s0
	s_xor_b64 s[14:15], s[14:15], s[0:1]
	s_delay_alu instid0(SALU_CYCLE_1) | instskip(SKIP_3) | instid1(VALU_DEP_1)
	v_cvt_f32_u32_e32 v0, s14
	v_cvt_f32_u32_e32 v1, s15
	s_sub_u32 s0, 0, s14
	s_subb_u32 s1, 0, s15
	v_fmamk_f32 v0, v1, 0x4f800000, v0
	s_delay_alu instid0(VALU_DEP_1) | instskip(SKIP_2) | instid1(VALU_DEP_1)
	v_rcp_f32_e32 v0, v0
	s_waitcnt_depctr 0xfff
	v_mul_f32_e32 v0, 0x5f7ffffc, v0
	v_mul_f32_e32 v1, 0x2f800000, v0
	s_delay_alu instid0(VALU_DEP_1) | instskip(NEXT) | instid1(VALU_DEP_1)
	v_trunc_f32_e32 v1, v1
	v_fmamk_f32 v0, v1, 0xcf800000, v0
	v_cvt_u32_f32_e32 v1, v1
	s_delay_alu instid0(VALU_DEP_2) | instskip(NEXT) | instid1(VALU_DEP_2)
	v_cvt_u32_f32_e32 v0, v0
	v_mul_lo_u32 v2, s0, v1
	s_delay_alu instid0(VALU_DEP_2) | instskip(SKIP_1) | instid1(VALU_DEP_2)
	v_mul_hi_u32 v3, s0, v0
	v_mul_lo_u32 v15, s1, v0
	v_add_nc_u32_e32 v2, v3, v2
	v_mul_lo_u32 v3, s0, v0
	s_delay_alu instid0(VALU_DEP_2) | instskip(NEXT) | instid1(VALU_DEP_2)
	v_add_nc_u32_e32 v2, v2, v15
	v_mul_hi_u32 v15, v0, v3
	s_delay_alu instid0(VALU_DEP_2)
	v_mul_lo_u32 v16, v0, v2
	v_mul_hi_u32 v17, v0, v2
	v_mul_hi_u32 v18, v1, v3
	v_mul_lo_u32 v3, v1, v3
	v_mul_hi_u32 v19, v1, v2
	v_mul_lo_u32 v2, v1, v2
	v_add_co_u32 v15, vcc_lo, v15, v16
	v_add_co_ci_u32_e32 v16, vcc_lo, 0, v17, vcc_lo
	s_delay_alu instid0(VALU_DEP_2) | instskip(NEXT) | instid1(VALU_DEP_2)
	v_add_co_u32 v3, vcc_lo, v15, v3
	v_add_co_ci_u32_e32 v3, vcc_lo, v16, v18, vcc_lo
	v_add_co_ci_u32_e32 v15, vcc_lo, 0, v19, vcc_lo
	s_delay_alu instid0(VALU_DEP_2) | instskip(NEXT) | instid1(VALU_DEP_2)
	v_add_co_u32 v2, vcc_lo, v3, v2
	v_add_co_ci_u32_e32 v3, vcc_lo, 0, v15, vcc_lo
	s_delay_alu instid0(VALU_DEP_2) | instskip(NEXT) | instid1(VALU_DEP_2)
	v_add_co_u32 v0, vcc_lo, v0, v2
	v_add_co_ci_u32_e32 v1, vcc_lo, v1, v3, vcc_lo
	s_delay_alu instid0(VALU_DEP_2) | instskip(SKIP_1) | instid1(VALU_DEP_3)
	v_mul_hi_u32 v2, s0, v0
	v_mul_lo_u32 v15, s1, v0
	v_mul_lo_u32 v3, s0, v1
	s_delay_alu instid0(VALU_DEP_1) | instskip(SKIP_1) | instid1(VALU_DEP_2)
	v_add_nc_u32_e32 v2, v2, v3
	v_mul_lo_u32 v3, s0, v0
	v_add_nc_u32_e32 v2, v2, v15
	s_delay_alu instid0(VALU_DEP_2) | instskip(NEXT) | instid1(VALU_DEP_2)
	v_mul_hi_u32 v15, v0, v3
	v_mul_lo_u32 v16, v0, v2
	v_mul_hi_u32 v17, v0, v2
	v_mul_hi_u32 v18, v1, v3
	v_mul_lo_u32 v3, v1, v3
	v_mul_hi_u32 v19, v1, v2
	v_mul_lo_u32 v2, v1, v2
	v_add_co_u32 v15, vcc_lo, v15, v16
	v_add_co_ci_u32_e32 v16, vcc_lo, 0, v17, vcc_lo
	s_delay_alu instid0(VALU_DEP_2) | instskip(NEXT) | instid1(VALU_DEP_2)
	v_add_co_u32 v3, vcc_lo, v15, v3
	v_add_co_ci_u32_e32 v3, vcc_lo, v16, v18, vcc_lo
	v_add_co_ci_u32_e32 v15, vcc_lo, 0, v19, vcc_lo
	s_delay_alu instid0(VALU_DEP_2) | instskip(NEXT) | instid1(VALU_DEP_2)
	v_add_co_u32 v2, vcc_lo, v3, v2
	v_add_co_ci_u32_e32 v3, vcc_lo, 0, v15, vcc_lo
	s_delay_alu instid0(VALU_DEP_2) | instskip(NEXT) | instid1(VALU_DEP_2)
	v_add_co_u32 v15, vcc_lo, v0, v2
	v_add_co_ci_u32_e32 v17, vcc_lo, v1, v3, vcc_lo
	s_delay_alu instid0(VALU_DEP_2) | instskip(SKIP_1) | instid1(VALU_DEP_3)
	v_mul_hi_u32 v18, v12, v15
	v_mad_u64_u32 v[2:3], null, 0, v15, 0
	v_mad_u64_u32 v[0:1], null, v12, v17, 0
	;; [unrolled: 1-line block ×3, first 2 shown]
	s_delay_alu instid0(VALU_DEP_2) | instskip(NEXT) | instid1(VALU_DEP_3)
	v_add_co_u32 v0, vcc_lo, v18, v0
	v_add_co_ci_u32_e32 v1, vcc_lo, 0, v1, vcc_lo
	s_delay_alu instid0(VALU_DEP_2) | instskip(NEXT) | instid1(VALU_DEP_2)
	v_add_co_u32 v0, vcc_lo, v0, v2
	v_add_co_ci_u32_e32 v0, vcc_lo, v1, v3, vcc_lo
	v_add_co_ci_u32_e32 v1, vcc_lo, 0, v16, vcc_lo
	s_delay_alu instid0(VALU_DEP_2) | instskip(NEXT) | instid1(VALU_DEP_2)
	v_add_co_u32 v2, vcc_lo, v0, v15
	v_add_co_ci_u32_e32 v3, vcc_lo, 0, v1, vcc_lo
	s_delay_alu instid0(VALU_DEP_2) | instskip(SKIP_1) | instid1(VALU_DEP_3)
	v_mul_lo_u32 v15, s15, v2
	v_mad_u64_u32 v[0:1], null, s14, v2, 0
	v_mul_lo_u32 v2, s14, v3
	s_delay_alu instid0(VALU_DEP_2) | instskip(NEXT) | instid1(VALU_DEP_2)
	v_sub_co_u32 v0, vcc_lo, v12, v0
	v_add3_u32 v1, v1, v2, v15
	s_delay_alu instid0(VALU_DEP_1) | instskip(NEXT) | instid1(VALU_DEP_1)
	v_sub_nc_u32_e32 v2, 0, v1
	v_subrev_co_ci_u32_e64 v2, s0, s15, v2, vcc_lo
	v_sub_co_ci_u32_e32 v1, vcc_lo, 0, v1, vcc_lo
	v_sub_co_u32 v3, vcc_lo, v0, s14
	s_delay_alu instid0(VALU_DEP_1) | instskip(SKIP_3) | instid1(VALU_DEP_3)
	v_subrev_co_ci_u32_e64 v15, s0, 0, v2, vcc_lo
	v_cmp_le_u32_e64 s0, s14, v0
	v_subrev_co_ci_u32_e32 v2, vcc_lo, s15, v2, vcc_lo
	v_cmp_le_u32_e32 vcc_lo, s15, v1
	v_cndmask_b32_e64 v16, 0, -1, s0
	v_cmp_le_u32_e64 s0, s14, v3
	v_cndmask_b32_e64 v19, 0, -1, vcc_lo
	v_cmp_eq_u32_e32 vcc_lo, s15, v15
	s_delay_alu instid0(VALU_DEP_3) | instskip(SKIP_1) | instid1(VALU_DEP_1)
	v_cndmask_b32_e64 v17, 0, -1, s0
	v_cmp_le_u32_e64 s0, s15, v15
	v_cndmask_b32_e64 v18, 0, -1, s0
	v_cmp_eq_u32_e64 s0, s15, v1
	s_delay_alu instid0(VALU_DEP_2) | instskip(SKIP_2) | instid1(VALU_DEP_3)
	v_cndmask_b32_e32 v17, v18, v17, vcc_lo
	v_sub_co_u32 v18, vcc_lo, v3, s14
	v_subrev_co_ci_u32_e32 v2, vcc_lo, 0, v2, vcc_lo
	v_cmp_ne_u32_e32 vcc_lo, 0, v17
	v_cndmask_b32_e64 v16, v19, v16, s0
	s_delay_alu instid0(VALU_DEP_3) | instskip(SKIP_1) | instid1(VALU_DEP_3)
	v_cndmask_b32_e32 v2, v15, v2, vcc_lo
	v_cndmask_b32_e32 v3, v3, v18, vcc_lo
	v_cmp_ne_u32_e32 vcc_lo, 0, v16
	s_delay_alu instid0(VALU_DEP_2) | instskip(NEXT) | instid1(VALU_DEP_1)
	v_dual_cndmask_b32 v1, v1, v2 :: v_dual_cndmask_b32 v0, v0, v3
	v_sub_co_u32 v2, vcc_lo, v0, 0
	s_delay_alu instid0(VALU_DEP_2)
	v_subrev_co_ci_u32_e32 v3, vcc_lo, 0, v1, vcc_lo
	s_and_not1_b32 vcc_lo, exec_lo, s10
	s_cbranch_vccnz .LBB57_11
.LBB57_10:
	v_cvt_f32_u32_e32 v0, s8
	s_sub_i32 s0, 0, s8
	v_mov_b32_e32 v3, 0
	s_delay_alu instid0(VALU_DEP_2) | instskip(SKIP_2) | instid1(VALU_DEP_1)
	v_rcp_iflag_f32_e32 v0, v0
	s_waitcnt_depctr 0xfff
	v_mul_f32_e32 v0, 0x4f7ffffe, v0
	v_cvt_u32_f32_e32 v0, v0
	s_delay_alu instid0(VALU_DEP_1) | instskip(NEXT) | instid1(VALU_DEP_1)
	v_mul_lo_u32 v1, s0, v0
	v_mul_hi_u32 v1, v0, v1
	s_delay_alu instid0(VALU_DEP_1) | instskip(NEXT) | instid1(VALU_DEP_1)
	v_add_nc_u32_e32 v0, v0, v1
	v_mul_hi_u32 v0, v12, v0
	s_delay_alu instid0(VALU_DEP_1) | instskip(NEXT) | instid1(VALU_DEP_1)
	v_mul_lo_u32 v0, v0, s8
	v_sub_nc_u32_e32 v0, v12, v0
	s_delay_alu instid0(VALU_DEP_1) | instskip(SKIP_1) | instid1(VALU_DEP_2)
	v_subrev_nc_u32_e32 v1, s8, v0
	v_cmp_le_u32_e32 vcc_lo, s8, v0
	v_cndmask_b32_e32 v0, v0, v1, vcc_lo
	s_delay_alu instid0(VALU_DEP_1) | instskip(SKIP_1) | instid1(VALU_DEP_2)
	v_subrev_nc_u32_e32 v1, s8, v0
	v_cmp_le_u32_e32 vcc_lo, s8, v0
	v_cndmask_b32_e32 v2, v0, v1, vcc_lo
.LBB57_11:
	v_lshlrev_b64 v[0:1], 3, v[12:13]
	s_delay_alu instid0(VALU_DEP_1) | instskip(NEXT) | instid1(VALU_DEP_2)
	v_add_co_u32 v0, vcc_lo, s6, v0
	v_add_co_ci_u32_e32 v1, vcc_lo, s7, v1, vcc_lo
	global_load_b64 v[0:1], v[0:1], off
	s_waitcnt vmcnt(0)
	v_sub_co_u32 v0, vcc_lo, v0, s12
	v_subrev_co_ci_u32_e32 v1, vcc_lo, 0, v1, vcc_lo
	s_delay_alu instid0(VALU_DEP_1)
	v_cmp_lt_i64_e32 vcc_lo, -1, v[0:1]
	s_and_b32 exec_lo, exec_lo, vcc_lo
	s_cbranch_execz .LBB57_39
; %bb.12:
	s_clause 0x1
	s_load_b128 s[8:11], s[2:3], 0x0
	s_load_b64 s[0:1], s[2:3], 0x48
	s_waitcnt lgkmcnt(0)
	s_cmp_eq_u32 s10, 1
	s_cselect_b32 s12, -1, 0
	s_cmpk_eq_i32 s8, 0x6f
	s_cselect_b32 s13, -1, 0
	s_cmpk_lg_i32 s8, 0x6f
	s_cselect_b32 s6, -1, 0
	s_cmp_lg_u32 s10, 1
	s_cbranch_scc0 .LBB57_17
; %bb.13:
	v_dual_mov_b32 v17, v3 :: v_dual_mov_b32 v16, v2
	s_and_not1_b32 vcc_lo, exec_lo, s13
	s_cbranch_vccnz .LBB57_15
; %bb.14:
	v_mul_lo_u32 v15, v3, s0
	v_mul_lo_u32 v18, v2, s1
	v_mad_u64_u32 v[16:17], null, v2, s0, 0
	s_delay_alu instid0(VALU_DEP_1)
	v_add3_u32 v17, v17, v18, v15
.LBB57_15:
	s_cbranch_execz .LBB57_18
	s_branch .LBB57_21
.LBB57_16:
                                        ; implicit-def: $vgpr2_vgpr3
	s_branch .LBB57_10
.LBB57_17:
                                        ; implicit-def: $vgpr16_vgpr17
.LBB57_18:
	s_and_not1_b32 vcc_lo, exec_lo, s6
	s_cbranch_vccnz .LBB57_20
; %bb.19:
	v_mul_lo_u32 v3, v3, s0
	v_mul_lo_u32 v17, v2, s1
	v_mad_u64_u32 v[15:16], null, v2, s0, 0
	s_delay_alu instid0(VALU_DEP_1) | instskip(NEXT) | instid1(VALU_DEP_1)
	v_add3_u32 v16, v16, v17, v3
	v_dual_mov_b32 v2, v15 :: v_dual_mov_b32 v3, v16
.LBB57_20:
	s_delay_alu instid0(VALU_DEP_1)
	v_dual_mov_b32 v17, v3 :: v_dual_mov_b32 v16, v2
.LBB57_21:
	s_cmp_eq_u32 s11, 1
	s_cselect_b32 s8, -1, 0
	s_cmpk_eq_i32 s9, 0x6f
	s_cselect_b32 s14, -1, 0
	s_cmpk_lg_i32 s9, 0x6f
	s_cselect_b32 s6, -1, 0
	s_cmp_lg_u32 s11, 1
	s_cbranch_scc0 .LBB57_25
; %bb.22:
	v_dual_mov_b32 v19, v1 :: v_dual_mov_b32 v18, v0
	s_and_not1_b32 vcc_lo, exec_lo, s6
	s_cbranch_vccnz .LBB57_24
; %bb.23:
	v_mul_lo_u32 v2, v1, s16
	v_mul_lo_u32 v3, v0, s17
	v_mad_u64_u32 v[18:19], null, v0, s16, 0
	s_delay_alu instid0(VALU_DEP_1)
	v_add3_u32 v19, v19, v3, v2
.LBB57_24:
	s_cbranch_execz .LBB57_26
	s_branch .LBB57_29
.LBB57_25:
                                        ; implicit-def: $vgpr18_vgpr19
.LBB57_26:
	s_and_not1_b32 vcc_lo, exec_lo, s14
	s_cbranch_vccnz .LBB57_28
; %bb.27:
	v_mul_lo_u32 v3, v1, s16
	v_mul_lo_u32 v15, v0, s17
	v_mad_u64_u32 v[1:2], null, v0, s16, 0
	s_delay_alu instid0(VALU_DEP_1) | instskip(NEXT) | instid1(VALU_DEP_2)
	v_add3_u32 v2, v2, v15, v3
	v_mov_b32_e32 v0, v1
	s_delay_alu instid0(VALU_DEP_2)
	v_mov_b32_e32 v1, v2
.LBB57_28:
	s_delay_alu instid0(VALU_DEP_1)
	v_dual_mov_b32 v19, v1 :: v_dual_mov_b32 v18, v0
.LBB57_29:
	s_load_b64 s[6:7], s[2:3], 0x70
	v_mov_b32_e32 v2, 0
	v_dual_mov_b32 v3, 0 :: v_dual_and_b32 v14, 3, v14
	s_delay_alu instid0(VALU_DEP_2) | instskip(SKIP_1) | instid1(VALU_DEP_2)
	v_dual_mov_b32 v15, 0 :: v_dual_mov_b32 v0, v2
	s_mov_b32 s10, exec_lo
	v_mov_b32_e32 v1, v3
	s_delay_alu instid0(VALU_DEP_2)
	v_cmpx_gt_i64_e64 s[4:5], v[14:15]
	s_cbranch_execz .LBB57_33
; %bb.30:
	s_xor_b32 s9, s13, s12
	v_lshlrev_b64 v[16:17], 4, v[16:17]
	s_and_b32 s9, s9, exec_lo
	s_cselect_b32 s13, 0, s1
	s_cselect_b32 s12, 1, s0
	s_xor_b32 s0, s14, s8
	v_mad_u64_u32 v[0:1], null, s12, v14, 0
	s_and_b32 s0, s0, exec_lo
	s_cselect_b32 s8, s16, 1
	s_cselect_b32 s9, s17, 0
	v_mad_u64_u32 v[20:21], null, s8, v14, 0
	s_clause 0x1
	s_load_b64 s[0:1], s[2:3], 0x40
	s_load_b64 s[2:3], s[2:3], 0x50
	v_lshlrev_b64 v[18:19], 4, v[18:19]
	s_delay_alu instid0(VALU_DEP_2) | instskip(NEXT) | instid1(VALU_DEP_1)
	v_mov_b32_e32 v2, v21
	v_mad_u64_u32 v[23:24], null, s13, v14, v[1:2]
	s_delay_alu instid0(VALU_DEP_1) | instskip(SKIP_3) | instid1(VALU_DEP_3)
	v_mov_b32_e32 v1, v23
	v_mad_u64_u32 v[24:25], null, s9, v14, v[2:3]
	s_lshl_b64 s[8:9], s[8:9], 6
	v_mov_b32_e32 v2, 0
	v_lshlrev_b64 v[0:1], 4, v[0:1]
	v_mov_b32_e32 v3, 0
	s_delay_alu instid0(VALU_DEP_4) | instskip(NEXT) | instid1(VALU_DEP_3)
	v_mov_b32_e32 v21, v24
	v_add_co_u32 v0, vcc_lo, v0, v16
	s_delay_alu instid0(VALU_DEP_4) | instskip(NEXT) | instid1(VALU_DEP_3)
	v_add_co_ci_u32_e32 v1, vcc_lo, v1, v17, vcc_lo
	v_lshlrev_b64 v[20:21], 4, v[20:21]
	s_delay_alu instid0(VALU_DEP_1) | instskip(NEXT) | instid1(VALU_DEP_2)
	v_add_co_u32 v16, vcc_lo, v20, v18
	v_add_co_ci_u32_e32 v17, vcc_lo, v21, v19, vcc_lo
	s_waitcnt lgkmcnt(0)
	v_add_co_u32 v0, vcc_lo, v0, s0
	v_add_co_ci_u32_e32 v1, vcc_lo, s1, v1, vcc_lo
	v_add_co_u32 v18, vcc_lo, v16, s2
	v_add_co_ci_u32_e32 v19, vcc_lo, s3, v17, vcc_lo
	s_delay_alu instid0(VALU_DEP_4) | instskip(NEXT) | instid1(VALU_DEP_4)
	v_add_co_u32 v16, vcc_lo, v0, 8
	v_add_co_ci_u32_e32 v17, vcc_lo, 0, v1, vcc_lo
	s_delay_alu instid0(VALU_DEP_4)
	v_add_co_u32 v18, vcc_lo, v18, 8
	v_dual_mov_b32 v21, v15 :: v_dual_mov_b32 v20, v14
	v_mov_b32_e32 v0, v2
	v_add_co_ci_u32_e32 v19, vcc_lo, 0, v19, vcc_lo
	v_mov_b32_e32 v1, v3
	s_mov_b32 s1, 0
	s_lshl_b64 s[2:3], s[12:13], 6
	.p2align	6
.LBB57_31:                              ; =>This Inner Loop Header: Depth=1
	global_load_b128 v[23:26], v[18:19], off offset:-8
	global_load_b128 v[27:30], v[16:17], off offset:-8
	v_add_co_u32 v20, vcc_lo, v20, 4
	v_add_co_ci_u32_e32 v21, vcc_lo, 0, v21, vcc_lo
	v_add_co_u32 v16, vcc_lo, v16, s2
	v_add_co_ci_u32_e32 v17, vcc_lo, s3, v17, vcc_lo
	s_delay_alu instid0(VALU_DEP_3) | instskip(SKIP_1) | instid1(VALU_DEP_1)
	v_cmp_le_i64_e32 vcc_lo, s[4:5], v[20:21]
	v_add_co_u32 v18, s0, v18, s8
	v_add_co_ci_u32_e64 v19, s0, s9, v19, s0
	s_or_b32 s1, vcc_lo, s1
	s_waitcnt vmcnt(0)
	v_mul_f64 v[31:32], v[25:26], -v[29:30]
	v_mul_f64 v[25:26], v[25:26], v[27:28]
	s_delay_alu instid0(VALU_DEP_2) | instskip(NEXT) | instid1(VALU_DEP_2)
	v_fma_f64 v[27:28], v[27:28], v[23:24], v[31:32]
	v_fma_f64 v[23:24], v[29:30], v[23:24], v[25:26]
	s_delay_alu instid0(VALU_DEP_2) | instskip(NEXT) | instid1(VALU_DEP_2)
	v_add_f64 v[0:1], v[0:1], v[27:28]
	v_add_f64 v[2:3], v[2:3], v[23:24]
	s_and_not1_b32 exec_lo, exec_lo, s1
	s_cbranch_execnz .LBB57_31
; %bb.32:
	s_or_b32 exec_lo, exec_lo, s1
.LBB57_33:
	s_delay_alu instid0(SALU_CYCLE_1) | instskip(SKIP_2) | instid1(VALU_DEP_1)
	s_or_b32 exec_lo, exec_lo, s10
	v_lshlrev_b32_e32 v15, 4, v14
	s_mov_b32 s0, exec_lo
	v_lshl_or_b32 v15, v22, 6, v15
	ds_store_b128 v15, v[0:3]
	s_waitcnt lgkmcnt(0)
	s_barrier
	buffer_gl0_inv
	v_cmpx_gt_u32_e32 2, v14
	s_cbranch_execz .LBB57_35
; %bb.34:
	ds_load_b128 v[0:3], v15
	ds_load_b128 v[16:19], v15 offset:32
	s_waitcnt lgkmcnt(0)
	v_add_f64 v[0:1], v[16:17], v[0:1]
	v_add_f64 v[2:3], v[18:19], v[2:3]
	ds_store_b128 v15, v[0:3]
.LBB57_35:
	s_or_b32 exec_lo, exec_lo, s0
	v_cmp_eq_u32_e32 vcc_lo, 0, v14
	v_lshlrev_b32_e32 v0, 6, v22
	s_waitcnt lgkmcnt(0)
	s_barrier
	buffer_gl0_inv
	s_and_saveexec_b32 s0, vcc_lo
	s_cbranch_execz .LBB57_37
; %bb.36:
	ds_load_b128 v[16:19], v0 offset:16
	ds_load_b128 v[20:23], v15
	s_waitcnt lgkmcnt(0)
	v_add_f64 v[16:17], v[16:17], v[20:21]
	v_add_f64 v[18:19], v[18:19], v[22:23]
	ds_store_b128 v15, v[16:19]
.LBB57_37:
	s_or_b32 exec_lo, exec_lo, s0
	s_waitcnt lgkmcnt(0)
	s_barrier
	buffer_gl0_inv
	s_and_b32 exec_lo, exec_lo, vcc_lo
	s_cbranch_execz .LBB57_39
; %bb.38:
	v_lshlrev_b64 v[1:2], 4, v[12:13]
	s_delay_alu instid0(VALU_DEP_1) | instskip(NEXT) | instid1(VALU_DEP_2)
	v_add_co_u32 v16, vcc_lo, s6, v1
	v_add_co_ci_u32_e32 v17, vcc_lo, s7, v2, vcc_lo
	ds_load_b128 v[0:3], v0
	global_load_b128 v[12:15], v[16:17], off
	s_waitcnt lgkmcnt(0)
	v_mul_f64 v[18:19], v[2:3], -v[6:7]
	v_mul_f64 v[2:3], v[4:5], v[2:3]
	s_delay_alu instid0(VALU_DEP_2) | instskip(NEXT) | instid1(VALU_DEP_2)
	v_fma_f64 v[4:5], v[4:5], v[0:1], v[18:19]
	v_fma_f64 v[2:3], v[6:7], v[0:1], v[2:3]
	s_waitcnt vmcnt(0)
	v_mul_f64 v[20:21], v[10:11], -v[14:15]
	v_mul_f64 v[10:11], v[10:11], v[12:13]
	s_delay_alu instid0(VALU_DEP_2) | instskip(NEXT) | instid1(VALU_DEP_2)
	v_fma_f64 v[0:1], v[12:13], v[8:9], v[20:21]
	v_fma_f64 v[6:7], v[14:15], v[8:9], v[10:11]
	s_delay_alu instid0(VALU_DEP_2) | instskip(NEXT) | instid1(VALU_DEP_2)
	v_add_f64 v[0:1], v[0:1], v[4:5]
	v_add_f64 v[2:3], v[6:7], v[2:3]
	global_store_b128 v[16:17], v[0:3], off
.LBB57_39:
	s_nop 0
	s_sendmsg sendmsg(MSG_DEALLOC_VGPRS)
	s_endpgm
	.section	.rodata,"a",@progbits
	.p2align	6, 0x0
	.amdhsa_kernel _ZN9rocsparseL16sddmm_ell_kernelILi512ELi4E21rocsparse_complex_numIdEllS2_S2_S2_EEv20rocsparse_operation_S3_16rocsparse_order_S4_T3_S5_S5_T2_NS_24const_host_device_scalarIT1_EEPKT4_lPKT5_lS9_PT6_PKS5_21rocsparse_index_base_b
		.amdhsa_group_segment_fixed_size 16384
		.amdhsa_private_segment_fixed_size 0
		.amdhsa_kernarg_size 136
		.amdhsa_user_sgpr_count 15
		.amdhsa_user_sgpr_dispatch_ptr 1
		.amdhsa_user_sgpr_queue_ptr 0
		.amdhsa_user_sgpr_kernarg_segment_ptr 1
		.amdhsa_user_sgpr_dispatch_id 0
		.amdhsa_user_sgpr_private_segment_size 0
		.amdhsa_wavefront_size32 1
		.amdhsa_uses_dynamic_stack 0
		.amdhsa_enable_private_segment 0
		.amdhsa_system_sgpr_workgroup_id_x 1
		.amdhsa_system_sgpr_workgroup_id_y 0
		.amdhsa_system_sgpr_workgroup_id_z 0
		.amdhsa_system_sgpr_workgroup_info 0
		.amdhsa_system_vgpr_workitem_id 2
		.amdhsa_next_free_vgpr 33
		.amdhsa_next_free_sgpr 22
		.amdhsa_reserve_vcc 1
		.amdhsa_float_round_mode_32 0
		.amdhsa_float_round_mode_16_64 0
		.amdhsa_float_denorm_mode_32 3
		.amdhsa_float_denorm_mode_16_64 3
		.amdhsa_dx10_clamp 1
		.amdhsa_ieee_mode 1
		.amdhsa_fp16_overflow 0
		.amdhsa_workgroup_processor_mode 1
		.amdhsa_memory_ordered 1
		.amdhsa_forward_progress 0
		.amdhsa_shared_vgpr_count 0
		.amdhsa_exception_fp_ieee_invalid_op 0
		.amdhsa_exception_fp_denorm_src 0
		.amdhsa_exception_fp_ieee_div_zero 0
		.amdhsa_exception_fp_ieee_overflow 0
		.amdhsa_exception_fp_ieee_underflow 0
		.amdhsa_exception_fp_ieee_inexact 0
		.amdhsa_exception_int_div_zero 0
	.end_amdhsa_kernel
	.section	.text._ZN9rocsparseL16sddmm_ell_kernelILi512ELi4E21rocsparse_complex_numIdEllS2_S2_S2_EEv20rocsparse_operation_S3_16rocsparse_order_S4_T3_S5_S5_T2_NS_24const_host_device_scalarIT1_EEPKT4_lPKT5_lS9_PT6_PKS5_21rocsparse_index_base_b,"axG",@progbits,_ZN9rocsparseL16sddmm_ell_kernelILi512ELi4E21rocsparse_complex_numIdEllS2_S2_S2_EEv20rocsparse_operation_S3_16rocsparse_order_S4_T3_S5_S5_T2_NS_24const_host_device_scalarIT1_EEPKT4_lPKT5_lS9_PT6_PKS5_21rocsparse_index_base_b,comdat
.Lfunc_end57:
	.size	_ZN9rocsparseL16sddmm_ell_kernelILi512ELi4E21rocsparse_complex_numIdEllS2_S2_S2_EEv20rocsparse_operation_S3_16rocsparse_order_S4_T3_S5_S5_T2_NS_24const_host_device_scalarIT1_EEPKT4_lPKT5_lS9_PT6_PKS5_21rocsparse_index_base_b, .Lfunc_end57-_ZN9rocsparseL16sddmm_ell_kernelILi512ELi4E21rocsparse_complex_numIdEllS2_S2_S2_EEv20rocsparse_operation_S3_16rocsparse_order_S4_T3_S5_S5_T2_NS_24const_host_device_scalarIT1_EEPKT4_lPKT5_lS9_PT6_PKS5_21rocsparse_index_base_b
                                        ; -- End function
	.section	.AMDGPU.csdata,"",@progbits
; Kernel info:
; codeLenInByte = 2596
; NumSgprs: 24
; NumVgprs: 33
; ScratchSize: 0
; MemoryBound: 0
; FloatMode: 240
; IeeeMode: 1
; LDSByteSize: 16384 bytes/workgroup (compile time only)
; SGPRBlocks: 2
; VGPRBlocks: 4
; NumSGPRsForWavesPerEU: 24
; NumVGPRsForWavesPerEU: 33
; Occupancy: 16
; WaveLimiterHint : 1
; COMPUTE_PGM_RSRC2:SCRATCH_EN: 0
; COMPUTE_PGM_RSRC2:USER_SGPR: 15
; COMPUTE_PGM_RSRC2:TRAP_HANDLER: 0
; COMPUTE_PGM_RSRC2:TGID_X_EN: 1
; COMPUTE_PGM_RSRC2:TGID_Y_EN: 0
; COMPUTE_PGM_RSRC2:TGID_Z_EN: 0
; COMPUTE_PGM_RSRC2:TIDIG_COMP_CNT: 2
	.section	.text._ZN9rocsparseL16sddmm_ell_kernelILi512ELi2E21rocsparse_complex_numIdEllS2_S2_S2_EEv20rocsparse_operation_S3_16rocsparse_order_S4_T3_S5_S5_T2_NS_24const_host_device_scalarIT1_EEPKT4_lPKT5_lS9_PT6_PKS5_21rocsparse_index_base_b,"axG",@progbits,_ZN9rocsparseL16sddmm_ell_kernelILi512ELi2E21rocsparse_complex_numIdEllS2_S2_S2_EEv20rocsparse_operation_S3_16rocsparse_order_S4_T3_S5_S5_T2_NS_24const_host_device_scalarIT1_EEPKT4_lPKT5_lS9_PT6_PKS5_21rocsparse_index_base_b,comdat
	.globl	_ZN9rocsparseL16sddmm_ell_kernelILi512ELi2E21rocsparse_complex_numIdEllS2_S2_S2_EEv20rocsparse_operation_S3_16rocsparse_order_S4_T3_S5_S5_T2_NS_24const_host_device_scalarIT1_EEPKT4_lPKT5_lS9_PT6_PKS5_21rocsparse_index_base_b ; -- Begin function _ZN9rocsparseL16sddmm_ell_kernelILi512ELi2E21rocsparse_complex_numIdEllS2_S2_S2_EEv20rocsparse_operation_S3_16rocsparse_order_S4_T3_S5_S5_T2_NS_24const_host_device_scalarIT1_EEPKT4_lPKT5_lS9_PT6_PKS5_21rocsparse_index_base_b
	.p2align	8
	.type	_ZN9rocsparseL16sddmm_ell_kernelILi512ELi2E21rocsparse_complex_numIdEllS2_S2_S2_EEv20rocsparse_operation_S3_16rocsparse_order_S4_T3_S5_S5_T2_NS_24const_host_device_scalarIT1_EEPKT4_lPKT5_lS9_PT6_PKS5_21rocsparse_index_base_b,@function
_ZN9rocsparseL16sddmm_ell_kernelILi512ELi2E21rocsparse_complex_numIdEllS2_S2_S2_EEv20rocsparse_operation_S3_16rocsparse_order_S4_T3_S5_S5_T2_NS_24const_host_device_scalarIT1_EEPKT4_lPKT5_lS9_PT6_PKS5_21rocsparse_index_base_b: ; @_ZN9rocsparseL16sddmm_ell_kernelILi512ELi2E21rocsparse_complex_numIdEllS2_S2_S2_EEv20rocsparse_operation_S3_16rocsparse_order_S4_T3_S5_S5_T2_NS_24const_host_device_scalarIT1_EEPKT4_lPKT5_lS9_PT6_PKS5_21rocsparse_index_base_b
; %bb.0:
	s_clause 0x1
	s_load_b64 s[12:13], s[2:3], 0x80
	s_load_b256 s[4:11], s[2:3], 0x20
	s_load_b64 s[20:21], s[0:1], 0x4
	s_mov_b64 s[0:1], src_shared_base
	v_and_b32_e32 v14, 0x3ff, v0
	s_load_b128 s[16:19], s[2:3], 0x58
	v_bfe_u32 v2, v0, 10, 10
	v_bfe_u32 v0, v0, 20, 10
	s_waitcnt lgkmcnt(0)
	s_bitcmp1_b32 s13, 0
	s_cselect_b32 s0, -1, 0
	s_delay_alu instid0(SALU_CYCLE_1) | instskip(SKIP_4) | instid1(SALU_CYCLE_1)
	s_and_b32 vcc_lo, s0, exec_lo
	s_cselect_b32 s13, s1, s9
	s_lshr_b32 s14, s20, 16
	v_mov_b32_e32 v5, s13
	s_mul_i32 s14, s14, s21
	v_mul_lo_u32 v1, s14, v14
	s_delay_alu instid0(VALU_DEP_1) | instskip(SKIP_2) | instid1(VALU_DEP_2)
	v_mad_u32_u24 v1, v2, s21, v1
	s_load_b64 s[20:21], s[2:3], 0x68
	v_dual_mov_b32 v2, s18 :: v_dual_mov_b32 v3, s19
	v_add_lshl_u32 v6, v1, v0, 3
	v_dual_mov_b32 v0, s8 :: v_dual_mov_b32 v1, s9
	s_delay_alu instid0(VALU_DEP_2)
	v_add_nc_u32_e32 v4, 0x3000, v6
	ds_store_2addr_stride64_b64 v6, v[2:3], v[0:1] offset0:16 offset1:24
	v_add_nc_u32_e32 v0, 0x2000, v6
	v_mov_b32_e32 v6, s10
	v_cndmask_b32_e64 v4, s8, v4, s0
	v_mov_b32_e32 v7, s11
	s_xor_b32 s10, s0, -1
	flat_load_b64 v[4:5], v[4:5]
	s_cbranch_vccnz .LBB58_2
; %bb.1:
	v_dual_mov_b32 v1, s8 :: v_dual_mov_b32 v2, s9
	flat_load_b64 v[6:7], v[1:2] offset:8
.LBB58_2:
	s_and_b32 s8, s0, exec_lo
	s_cselect_b32 s1, s1, s19
	v_cndmask_b32_e64 v0, s18, v0, s0
	s_waitcnt lgkmcnt(0)
	v_dual_mov_b32 v1, s1 :: v_dual_mov_b32 v10, s20
	v_mov_b32_e32 v11, s21
	s_and_not1_b32 vcc_lo, exec_lo, s10
	flat_load_b64 v[8:9], v[0:1]
	s_cbranch_vccnz .LBB58_4
; %bb.3:
	v_dual_mov_b32 v0, s18 :: v_dual_mov_b32 v1, s19
	flat_load_b64 v[10:11], v[0:1] offset:8
.LBB58_4:
	s_waitcnt vmcnt(1)
	v_cmp_eq_f64_e32 vcc_lo, 0, v[4:5]
	v_cmp_eq_f64_e64 s0, 0, v[6:7]
	s_delay_alu instid0(VALU_DEP_1)
	s_and_b32 s8, vcc_lo, s0
	s_mov_b32 s0, -1
	s_and_saveexec_b32 s1, s8
	s_cbranch_execz .LBB58_6
; %bb.5:
	s_waitcnt vmcnt(0) lgkmcnt(0)
	v_cmp_neq_f64_e32 vcc_lo, 1.0, v[8:9]
	v_cmp_neq_f64_e64 s0, 0, v[10:11]
	s_delay_alu instid0(VALU_DEP_1) | instskip(NEXT) | instid1(SALU_CYCLE_1)
	s_or_b32 s0, vcc_lo, s0
	s_or_not1_b32 s0, s0, exec_lo
.LBB58_6:
	s_or_b32 exec_lo, exec_lo, s1
	s_and_saveexec_b32 s1, s0
	s_cbranch_execz .LBB58_37
; %bb.7:
	v_lshrrev_b32_e32 v22, 1, v14
	v_mov_b32_e32 v13, 0
	s_delay_alu instid0(VALU_DEP_2) | instskip(NEXT) | instid1(VALU_DEP_1)
	v_lshl_or_b32 v12, s15, 8, v22
	v_cmp_gt_i64_e32 vcc_lo, s[6:7], v[12:13]
	s_and_b32 exec_lo, exec_lo, vcc_lo
	s_cbranch_execz .LBB58_37
; %bb.8:
	s_clause 0x1
	s_load_b64 s[8:9], s[2:3], 0x10
	s_load_b64 s[6:7], s[2:3], 0x78
	s_mov_b32 s10, 0
	s_waitcnt lgkmcnt(0)
	s_mov_b32 s11, s9
	s_delay_alu instid0(SALU_CYCLE_1)
	s_cmp_lg_u64 s[10:11], 0
	s_cbranch_scc0 .LBB58_16
; %bb.9:
	s_ashr_i32 s0, s9, 31
	s_delay_alu instid0(SALU_CYCLE_1) | instskip(SKIP_2) | instid1(SALU_CYCLE_1)
	s_add_u32 s14, s8, s0
	s_mov_b32 s1, s0
	s_addc_u32 s15, s9, s0
	s_xor_b64 s[14:15], s[14:15], s[0:1]
	s_delay_alu instid0(SALU_CYCLE_1) | instskip(SKIP_3) | instid1(VALU_DEP_1)
	v_cvt_f32_u32_e32 v0, s14
	v_cvt_f32_u32_e32 v1, s15
	s_sub_u32 s0, 0, s14
	s_subb_u32 s1, 0, s15
	v_fmamk_f32 v0, v1, 0x4f800000, v0
	s_delay_alu instid0(VALU_DEP_1) | instskip(SKIP_2) | instid1(VALU_DEP_1)
	v_rcp_f32_e32 v0, v0
	s_waitcnt_depctr 0xfff
	v_mul_f32_e32 v0, 0x5f7ffffc, v0
	v_mul_f32_e32 v1, 0x2f800000, v0
	s_delay_alu instid0(VALU_DEP_1) | instskip(NEXT) | instid1(VALU_DEP_1)
	v_trunc_f32_e32 v1, v1
	v_fmamk_f32 v0, v1, 0xcf800000, v0
	v_cvt_u32_f32_e32 v1, v1
	s_delay_alu instid0(VALU_DEP_2) | instskip(NEXT) | instid1(VALU_DEP_2)
	v_cvt_u32_f32_e32 v0, v0
	v_mul_lo_u32 v2, s0, v1
	s_delay_alu instid0(VALU_DEP_2) | instskip(SKIP_1) | instid1(VALU_DEP_2)
	v_mul_hi_u32 v3, s0, v0
	v_mul_lo_u32 v15, s1, v0
	v_add_nc_u32_e32 v2, v3, v2
	v_mul_lo_u32 v3, s0, v0
	s_delay_alu instid0(VALU_DEP_2) | instskip(NEXT) | instid1(VALU_DEP_2)
	v_add_nc_u32_e32 v2, v2, v15
	v_mul_hi_u32 v15, v0, v3
	s_delay_alu instid0(VALU_DEP_2)
	v_mul_lo_u32 v16, v0, v2
	v_mul_hi_u32 v17, v0, v2
	v_mul_hi_u32 v18, v1, v3
	v_mul_lo_u32 v3, v1, v3
	v_mul_hi_u32 v19, v1, v2
	v_mul_lo_u32 v2, v1, v2
	v_add_co_u32 v15, vcc_lo, v15, v16
	v_add_co_ci_u32_e32 v16, vcc_lo, 0, v17, vcc_lo
	s_delay_alu instid0(VALU_DEP_2) | instskip(NEXT) | instid1(VALU_DEP_2)
	v_add_co_u32 v3, vcc_lo, v15, v3
	v_add_co_ci_u32_e32 v3, vcc_lo, v16, v18, vcc_lo
	v_add_co_ci_u32_e32 v15, vcc_lo, 0, v19, vcc_lo
	s_delay_alu instid0(VALU_DEP_2) | instskip(NEXT) | instid1(VALU_DEP_2)
	v_add_co_u32 v2, vcc_lo, v3, v2
	v_add_co_ci_u32_e32 v3, vcc_lo, 0, v15, vcc_lo
	s_delay_alu instid0(VALU_DEP_2) | instskip(NEXT) | instid1(VALU_DEP_2)
	v_add_co_u32 v0, vcc_lo, v0, v2
	v_add_co_ci_u32_e32 v1, vcc_lo, v1, v3, vcc_lo
	s_delay_alu instid0(VALU_DEP_2) | instskip(SKIP_1) | instid1(VALU_DEP_3)
	v_mul_hi_u32 v2, s0, v0
	v_mul_lo_u32 v15, s1, v0
	v_mul_lo_u32 v3, s0, v1
	s_delay_alu instid0(VALU_DEP_1) | instskip(SKIP_1) | instid1(VALU_DEP_2)
	v_add_nc_u32_e32 v2, v2, v3
	v_mul_lo_u32 v3, s0, v0
	v_add_nc_u32_e32 v2, v2, v15
	s_delay_alu instid0(VALU_DEP_2) | instskip(NEXT) | instid1(VALU_DEP_2)
	v_mul_hi_u32 v15, v0, v3
	v_mul_lo_u32 v16, v0, v2
	v_mul_hi_u32 v17, v0, v2
	v_mul_hi_u32 v18, v1, v3
	v_mul_lo_u32 v3, v1, v3
	v_mul_hi_u32 v19, v1, v2
	v_mul_lo_u32 v2, v1, v2
	v_add_co_u32 v15, vcc_lo, v15, v16
	v_add_co_ci_u32_e32 v16, vcc_lo, 0, v17, vcc_lo
	s_delay_alu instid0(VALU_DEP_2) | instskip(NEXT) | instid1(VALU_DEP_2)
	v_add_co_u32 v3, vcc_lo, v15, v3
	v_add_co_ci_u32_e32 v3, vcc_lo, v16, v18, vcc_lo
	v_add_co_ci_u32_e32 v15, vcc_lo, 0, v19, vcc_lo
	s_delay_alu instid0(VALU_DEP_2) | instskip(NEXT) | instid1(VALU_DEP_2)
	v_add_co_u32 v2, vcc_lo, v3, v2
	v_add_co_ci_u32_e32 v3, vcc_lo, 0, v15, vcc_lo
	s_delay_alu instid0(VALU_DEP_2) | instskip(NEXT) | instid1(VALU_DEP_2)
	v_add_co_u32 v15, vcc_lo, v0, v2
	v_add_co_ci_u32_e32 v17, vcc_lo, v1, v3, vcc_lo
	s_delay_alu instid0(VALU_DEP_2) | instskip(SKIP_1) | instid1(VALU_DEP_3)
	v_mul_hi_u32 v18, v12, v15
	v_mad_u64_u32 v[2:3], null, 0, v15, 0
	v_mad_u64_u32 v[0:1], null, v12, v17, 0
	v_mad_u64_u32 v[15:16], null, 0, v17, 0
	s_delay_alu instid0(VALU_DEP_2) | instskip(NEXT) | instid1(VALU_DEP_3)
	v_add_co_u32 v0, vcc_lo, v18, v0
	v_add_co_ci_u32_e32 v1, vcc_lo, 0, v1, vcc_lo
	s_delay_alu instid0(VALU_DEP_2) | instskip(NEXT) | instid1(VALU_DEP_2)
	v_add_co_u32 v0, vcc_lo, v0, v2
	v_add_co_ci_u32_e32 v0, vcc_lo, v1, v3, vcc_lo
	v_add_co_ci_u32_e32 v1, vcc_lo, 0, v16, vcc_lo
	s_delay_alu instid0(VALU_DEP_2) | instskip(NEXT) | instid1(VALU_DEP_2)
	v_add_co_u32 v2, vcc_lo, v0, v15
	v_add_co_ci_u32_e32 v3, vcc_lo, 0, v1, vcc_lo
	s_delay_alu instid0(VALU_DEP_2) | instskip(SKIP_1) | instid1(VALU_DEP_3)
	v_mul_lo_u32 v15, s15, v2
	v_mad_u64_u32 v[0:1], null, s14, v2, 0
	v_mul_lo_u32 v2, s14, v3
	s_delay_alu instid0(VALU_DEP_2) | instskip(NEXT) | instid1(VALU_DEP_2)
	v_sub_co_u32 v0, vcc_lo, v12, v0
	v_add3_u32 v1, v1, v2, v15
	s_delay_alu instid0(VALU_DEP_1) | instskip(NEXT) | instid1(VALU_DEP_1)
	v_sub_nc_u32_e32 v2, 0, v1
	v_subrev_co_ci_u32_e64 v2, s0, s15, v2, vcc_lo
	v_sub_co_ci_u32_e32 v1, vcc_lo, 0, v1, vcc_lo
	v_sub_co_u32 v3, vcc_lo, v0, s14
	s_delay_alu instid0(VALU_DEP_1) | instskip(SKIP_3) | instid1(VALU_DEP_3)
	v_subrev_co_ci_u32_e64 v15, s0, 0, v2, vcc_lo
	v_cmp_le_u32_e64 s0, s14, v0
	v_subrev_co_ci_u32_e32 v2, vcc_lo, s15, v2, vcc_lo
	v_cmp_le_u32_e32 vcc_lo, s15, v1
	v_cndmask_b32_e64 v16, 0, -1, s0
	v_cmp_le_u32_e64 s0, s14, v3
	v_cndmask_b32_e64 v19, 0, -1, vcc_lo
	v_cmp_eq_u32_e32 vcc_lo, s15, v15
	s_delay_alu instid0(VALU_DEP_3) | instskip(SKIP_1) | instid1(VALU_DEP_1)
	v_cndmask_b32_e64 v17, 0, -1, s0
	v_cmp_le_u32_e64 s0, s15, v15
	v_cndmask_b32_e64 v18, 0, -1, s0
	v_cmp_eq_u32_e64 s0, s15, v1
	s_delay_alu instid0(VALU_DEP_2) | instskip(SKIP_2) | instid1(VALU_DEP_3)
	v_cndmask_b32_e32 v17, v18, v17, vcc_lo
	v_sub_co_u32 v18, vcc_lo, v3, s14
	v_subrev_co_ci_u32_e32 v2, vcc_lo, 0, v2, vcc_lo
	v_cmp_ne_u32_e32 vcc_lo, 0, v17
	v_cndmask_b32_e64 v16, v19, v16, s0
	s_delay_alu instid0(VALU_DEP_3) | instskip(SKIP_1) | instid1(VALU_DEP_3)
	v_cndmask_b32_e32 v2, v15, v2, vcc_lo
	v_cndmask_b32_e32 v3, v3, v18, vcc_lo
	v_cmp_ne_u32_e32 vcc_lo, 0, v16
	s_delay_alu instid0(VALU_DEP_2) | instskip(NEXT) | instid1(VALU_DEP_1)
	v_dual_cndmask_b32 v1, v1, v2 :: v_dual_cndmask_b32 v0, v0, v3
	v_sub_co_u32 v2, vcc_lo, v0, 0
	s_delay_alu instid0(VALU_DEP_2)
	v_subrev_co_ci_u32_e32 v3, vcc_lo, 0, v1, vcc_lo
	s_and_not1_b32 vcc_lo, exec_lo, s10
	s_cbranch_vccnz .LBB58_11
.LBB58_10:
	v_cvt_f32_u32_e32 v0, s8
	s_sub_i32 s0, 0, s8
	v_mov_b32_e32 v3, 0
	s_delay_alu instid0(VALU_DEP_2) | instskip(SKIP_2) | instid1(VALU_DEP_1)
	v_rcp_iflag_f32_e32 v0, v0
	s_waitcnt_depctr 0xfff
	v_mul_f32_e32 v0, 0x4f7ffffe, v0
	v_cvt_u32_f32_e32 v0, v0
	s_delay_alu instid0(VALU_DEP_1) | instskip(NEXT) | instid1(VALU_DEP_1)
	v_mul_lo_u32 v1, s0, v0
	v_mul_hi_u32 v1, v0, v1
	s_delay_alu instid0(VALU_DEP_1) | instskip(NEXT) | instid1(VALU_DEP_1)
	v_add_nc_u32_e32 v0, v0, v1
	v_mul_hi_u32 v0, v12, v0
	s_delay_alu instid0(VALU_DEP_1) | instskip(NEXT) | instid1(VALU_DEP_1)
	v_mul_lo_u32 v0, v0, s8
	v_sub_nc_u32_e32 v0, v12, v0
	s_delay_alu instid0(VALU_DEP_1) | instskip(SKIP_1) | instid1(VALU_DEP_2)
	v_subrev_nc_u32_e32 v1, s8, v0
	v_cmp_le_u32_e32 vcc_lo, s8, v0
	v_cndmask_b32_e32 v0, v0, v1, vcc_lo
	s_delay_alu instid0(VALU_DEP_1) | instskip(SKIP_1) | instid1(VALU_DEP_2)
	v_subrev_nc_u32_e32 v1, s8, v0
	v_cmp_le_u32_e32 vcc_lo, s8, v0
	v_cndmask_b32_e32 v2, v0, v1, vcc_lo
.LBB58_11:
	v_lshlrev_b64 v[0:1], 3, v[12:13]
	s_delay_alu instid0(VALU_DEP_1) | instskip(NEXT) | instid1(VALU_DEP_2)
	v_add_co_u32 v0, vcc_lo, s6, v0
	v_add_co_ci_u32_e32 v1, vcc_lo, s7, v1, vcc_lo
	global_load_b64 v[0:1], v[0:1], off
	s_waitcnt vmcnt(0)
	v_sub_co_u32 v0, vcc_lo, v0, s12
	v_subrev_co_ci_u32_e32 v1, vcc_lo, 0, v1, vcc_lo
	s_delay_alu instid0(VALU_DEP_1)
	v_cmp_lt_i64_e32 vcc_lo, -1, v[0:1]
	s_and_b32 exec_lo, exec_lo, vcc_lo
	s_cbranch_execz .LBB58_37
; %bb.12:
	s_clause 0x1
	s_load_b128 s[8:11], s[2:3], 0x0
	s_load_b64 s[0:1], s[2:3], 0x48
	s_waitcnt lgkmcnt(0)
	s_cmp_eq_u32 s10, 1
	s_cselect_b32 s12, -1, 0
	s_cmpk_eq_i32 s8, 0x6f
	s_cselect_b32 s13, -1, 0
	s_cmpk_lg_i32 s8, 0x6f
	s_cselect_b32 s6, -1, 0
	s_cmp_lg_u32 s10, 1
	s_cbranch_scc0 .LBB58_17
; %bb.13:
	v_dual_mov_b32 v17, v3 :: v_dual_mov_b32 v16, v2
	s_and_not1_b32 vcc_lo, exec_lo, s13
	s_cbranch_vccnz .LBB58_15
; %bb.14:
	v_mul_lo_u32 v15, v3, s0
	v_mul_lo_u32 v18, v2, s1
	v_mad_u64_u32 v[16:17], null, v2, s0, 0
	s_delay_alu instid0(VALU_DEP_1)
	v_add3_u32 v17, v17, v18, v15
.LBB58_15:
	s_cbranch_execz .LBB58_18
	s_branch .LBB58_21
.LBB58_16:
                                        ; implicit-def: $vgpr2_vgpr3
	s_branch .LBB58_10
.LBB58_17:
                                        ; implicit-def: $vgpr16_vgpr17
.LBB58_18:
	s_and_not1_b32 vcc_lo, exec_lo, s6
	s_cbranch_vccnz .LBB58_20
; %bb.19:
	v_mul_lo_u32 v3, v3, s0
	v_mul_lo_u32 v17, v2, s1
	v_mad_u64_u32 v[15:16], null, v2, s0, 0
	s_delay_alu instid0(VALU_DEP_1) | instskip(NEXT) | instid1(VALU_DEP_1)
	v_add3_u32 v16, v16, v17, v3
	v_dual_mov_b32 v2, v15 :: v_dual_mov_b32 v3, v16
.LBB58_20:
	s_delay_alu instid0(VALU_DEP_1)
	v_dual_mov_b32 v17, v3 :: v_dual_mov_b32 v16, v2
.LBB58_21:
	s_cmp_eq_u32 s11, 1
	s_cselect_b32 s8, -1, 0
	s_cmpk_eq_i32 s9, 0x6f
	s_cselect_b32 s14, -1, 0
	s_cmpk_lg_i32 s9, 0x6f
	s_cselect_b32 s6, -1, 0
	s_cmp_lg_u32 s11, 1
	s_cbranch_scc0 .LBB58_25
; %bb.22:
	v_dual_mov_b32 v19, v1 :: v_dual_mov_b32 v18, v0
	s_and_not1_b32 vcc_lo, exec_lo, s6
	s_cbranch_vccnz .LBB58_24
; %bb.23:
	v_mul_lo_u32 v2, v1, s16
	v_mul_lo_u32 v3, v0, s17
	v_mad_u64_u32 v[18:19], null, v0, s16, 0
	s_delay_alu instid0(VALU_DEP_1)
	v_add3_u32 v19, v19, v3, v2
.LBB58_24:
	s_cbranch_execz .LBB58_26
	s_branch .LBB58_29
.LBB58_25:
                                        ; implicit-def: $vgpr18_vgpr19
.LBB58_26:
	s_and_not1_b32 vcc_lo, exec_lo, s14
	s_cbranch_vccnz .LBB58_28
; %bb.27:
	v_mul_lo_u32 v3, v1, s16
	v_mul_lo_u32 v15, v0, s17
	v_mad_u64_u32 v[1:2], null, v0, s16, 0
	s_delay_alu instid0(VALU_DEP_1) | instskip(NEXT) | instid1(VALU_DEP_2)
	v_add3_u32 v2, v2, v15, v3
	v_mov_b32_e32 v0, v1
	s_delay_alu instid0(VALU_DEP_2)
	v_mov_b32_e32 v1, v2
.LBB58_28:
	s_delay_alu instid0(VALU_DEP_1)
	v_dual_mov_b32 v19, v1 :: v_dual_mov_b32 v18, v0
.LBB58_29:
	s_load_b64 s[6:7], s[2:3], 0x70
	v_mov_b32_e32 v2, 0
	v_dual_mov_b32 v3, 0 :: v_dual_and_b32 v14, 1, v14
	s_delay_alu instid0(VALU_DEP_2) | instskip(SKIP_1) | instid1(VALU_DEP_2)
	v_dual_mov_b32 v15, 0 :: v_dual_mov_b32 v0, v2
	s_mov_b32 s10, exec_lo
	v_mov_b32_e32 v1, v3
	s_delay_alu instid0(VALU_DEP_2)
	v_cmpx_gt_i64_e64 s[4:5], v[14:15]
	s_cbranch_execz .LBB58_33
; %bb.30:
	s_xor_b32 s9, s13, s12
	v_lshlrev_b64 v[2:3], 4, v[16:17]
	s_and_b32 s9, s9, exec_lo
	s_cselect_b32 s13, 0, s1
	s_cselect_b32 s12, 1, s0
	s_load_b64 s[0:1], s[2:3], 0x40
	v_mul_lo_u32 v1, s13, v14
	v_mul_lo_u32 v0, s12, v14
	s_xor_b32 s8, s14, s8
	s_load_b64 s[2:3], s[2:3], 0x50
	s_and_b32 s8, s8, exec_lo
	s_cselect_b32 s9, s17, 0
	s_cselect_b32 s8, s16, 1
	v_mul_lo_u32 v17, s9, v14
	v_mul_lo_u32 v16, s8, v14
	v_lshlrev_b64 v[0:1], 4, v[0:1]
	v_lshlrev_b64 v[18:19], 4, v[18:19]
	s_lshl_b64 s[8:9], s[8:9], 5
	v_dual_mov_b32 v21, v15 :: v_dual_mov_b32 v20, v14
	s_delay_alu instid0(VALU_DEP_3) | instskip(NEXT) | instid1(VALU_DEP_4)
	v_add_co_u32 v2, vcc_lo, v0, v2
	v_add_co_ci_u32_e32 v3, vcc_lo, v1, v3, vcc_lo
	v_lshlrev_b64 v[0:1], 4, v[16:17]
	s_waitcnt lgkmcnt(0)
	s_delay_alu instid0(VALU_DEP_3) | instskip(NEXT) | instid1(VALU_DEP_3)
	v_add_co_u32 v2, vcc_lo, v2, s0
	v_add_co_ci_u32_e32 v3, vcc_lo, s1, v3, vcc_lo
	s_mov_b32 s1, 0
	s_delay_alu instid0(VALU_DEP_3) | instskip(SKIP_3) | instid1(VALU_DEP_4)
	v_add_co_u32 v0, vcc_lo, v0, v18
	v_add_co_ci_u32_e32 v1, vcc_lo, v1, v19, vcc_lo
	v_add_co_u32 v16, vcc_lo, v2, 8
	v_add_co_ci_u32_e32 v17, vcc_lo, 0, v3, vcc_lo
	v_add_co_u32 v0, vcc_lo, v0, s2
	v_mov_b32_e32 v2, 0
	v_add_co_ci_u32_e32 v1, vcc_lo, s3, v1, vcc_lo
	v_mov_b32_e32 v3, 0
	s_delay_alu instid0(VALU_DEP_4) | instskip(NEXT) | instid1(VALU_DEP_3)
	v_add_co_u32 v18, vcc_lo, v0, 8
	v_add_co_ci_u32_e32 v19, vcc_lo, 0, v1, vcc_lo
	s_delay_alu instid0(VALU_DEP_3)
	v_dual_mov_b32 v0, v2 :: v_dual_mov_b32 v1, v3
	s_lshl_b64 s[2:3], s[12:13], 5
	.p2align	6
.LBB58_31:                              ; =>This Inner Loop Header: Depth=1
	global_load_b128 v[23:26], v[18:19], off offset:-8
	global_load_b128 v[27:30], v[16:17], off offset:-8
	v_add_co_u32 v20, vcc_lo, v20, 2
	v_add_co_ci_u32_e32 v21, vcc_lo, 0, v21, vcc_lo
	v_add_co_u32 v16, vcc_lo, v16, s2
	v_add_co_ci_u32_e32 v17, vcc_lo, s3, v17, vcc_lo
	s_delay_alu instid0(VALU_DEP_3) | instskip(SKIP_1) | instid1(VALU_DEP_1)
	v_cmp_le_i64_e32 vcc_lo, s[4:5], v[20:21]
	v_add_co_u32 v18, s0, v18, s8
	v_add_co_ci_u32_e64 v19, s0, s9, v19, s0
	s_or_b32 s1, vcc_lo, s1
	s_waitcnt vmcnt(0)
	v_mul_f64 v[31:32], v[25:26], -v[29:30]
	v_mul_f64 v[25:26], v[25:26], v[27:28]
	s_delay_alu instid0(VALU_DEP_2) | instskip(NEXT) | instid1(VALU_DEP_2)
	v_fma_f64 v[27:28], v[27:28], v[23:24], v[31:32]
	v_fma_f64 v[23:24], v[29:30], v[23:24], v[25:26]
	s_delay_alu instid0(VALU_DEP_2) | instskip(NEXT) | instid1(VALU_DEP_2)
	v_add_f64 v[0:1], v[0:1], v[27:28]
	v_add_f64 v[2:3], v[2:3], v[23:24]
	s_and_not1_b32 exec_lo, exec_lo, s1
	s_cbranch_execnz .LBB58_31
; %bb.32:
	s_or_b32 exec_lo, exec_lo, s1
.LBB58_33:
	s_delay_alu instid0(SALU_CYCLE_1) | instskip(SKIP_2) | instid1(VALU_DEP_2)
	s_or_b32 exec_lo, exec_lo, s10
	v_lshlrev_b32_e32 v15, 5, v22
	v_cmp_eq_u32_e32 vcc_lo, 0, v14
	v_lshl_or_b32 v16, v14, 4, v15
	ds_store_b128 v16, v[0:3]
	s_waitcnt lgkmcnt(0)
	s_barrier
	buffer_gl0_inv
	s_and_saveexec_b32 s0, vcc_lo
	s_cbranch_execz .LBB58_35
; %bb.34:
	ds_load_b128 v[0:3], v15 offset:16
	ds_load_b128 v[17:20], v16
	s_waitcnt lgkmcnt(0)
	v_add_f64 v[0:1], v[0:1], v[17:18]
	v_add_f64 v[2:3], v[2:3], v[19:20]
	ds_store_b128 v16, v[0:3]
.LBB58_35:
	s_or_b32 exec_lo, exec_lo, s0
	s_waitcnt lgkmcnt(0)
	s_barrier
	buffer_gl0_inv
	s_and_b32 exec_lo, exec_lo, vcc_lo
	s_cbranch_execz .LBB58_37
; %bb.36:
	v_lshlrev_b64 v[0:1], 4, v[12:13]
	ds_load_b128 v[12:15], v15
	v_add_co_u32 v16, vcc_lo, s6, v0
	v_add_co_ci_u32_e32 v17, vcc_lo, s7, v1, vcc_lo
	global_load_b128 v[0:3], v[16:17], off
	s_waitcnt lgkmcnt(0)
	v_mul_f64 v[18:19], v[14:15], -v[6:7]
	v_mul_f64 v[14:15], v[4:5], v[14:15]
	s_delay_alu instid0(VALU_DEP_2) | instskip(NEXT) | instid1(VALU_DEP_2)
	v_fma_f64 v[4:5], v[4:5], v[12:13], v[18:19]
	v_fma_f64 v[6:7], v[6:7], v[12:13], v[14:15]
	s_waitcnt vmcnt(0)
	v_mul_f64 v[20:21], v[10:11], -v[2:3]
	v_mul_f64 v[10:11], v[10:11], v[0:1]
	s_delay_alu instid0(VALU_DEP_2) | instskip(NEXT) | instid1(VALU_DEP_2)
	v_fma_f64 v[0:1], v[0:1], v[8:9], v[20:21]
	v_fma_f64 v[2:3], v[2:3], v[8:9], v[10:11]
	s_delay_alu instid0(VALU_DEP_2) | instskip(NEXT) | instid1(VALU_DEP_2)
	v_add_f64 v[0:1], v[0:1], v[4:5]
	v_add_f64 v[2:3], v[2:3], v[6:7]
	global_store_b128 v[16:17], v[0:3], off
.LBB58_37:
	s_nop 0
	s_sendmsg sendmsg(MSG_DEALLOC_VGPRS)
	s_endpgm
	.section	.rodata,"a",@progbits
	.p2align	6, 0x0
	.amdhsa_kernel _ZN9rocsparseL16sddmm_ell_kernelILi512ELi2E21rocsparse_complex_numIdEllS2_S2_S2_EEv20rocsparse_operation_S3_16rocsparse_order_S4_T3_S5_S5_T2_NS_24const_host_device_scalarIT1_EEPKT4_lPKT5_lS9_PT6_PKS5_21rocsparse_index_base_b
		.amdhsa_group_segment_fixed_size 16384
		.amdhsa_private_segment_fixed_size 0
		.amdhsa_kernarg_size 136
		.amdhsa_user_sgpr_count 15
		.amdhsa_user_sgpr_dispatch_ptr 1
		.amdhsa_user_sgpr_queue_ptr 0
		.amdhsa_user_sgpr_kernarg_segment_ptr 1
		.amdhsa_user_sgpr_dispatch_id 0
		.amdhsa_user_sgpr_private_segment_size 0
		.amdhsa_wavefront_size32 1
		.amdhsa_uses_dynamic_stack 0
		.amdhsa_enable_private_segment 0
		.amdhsa_system_sgpr_workgroup_id_x 1
		.amdhsa_system_sgpr_workgroup_id_y 0
		.amdhsa_system_sgpr_workgroup_id_z 0
		.amdhsa_system_sgpr_workgroup_info 0
		.amdhsa_system_vgpr_workitem_id 2
		.amdhsa_next_free_vgpr 33
		.amdhsa_next_free_sgpr 22
		.amdhsa_reserve_vcc 1
		.amdhsa_float_round_mode_32 0
		.amdhsa_float_round_mode_16_64 0
		.amdhsa_float_denorm_mode_32 3
		.amdhsa_float_denorm_mode_16_64 3
		.amdhsa_dx10_clamp 1
		.amdhsa_ieee_mode 1
		.amdhsa_fp16_overflow 0
		.amdhsa_workgroup_processor_mode 1
		.amdhsa_memory_ordered 1
		.amdhsa_forward_progress 0
		.amdhsa_shared_vgpr_count 0
		.amdhsa_exception_fp_ieee_invalid_op 0
		.amdhsa_exception_fp_denorm_src 0
		.amdhsa_exception_fp_ieee_div_zero 0
		.amdhsa_exception_fp_ieee_overflow 0
		.amdhsa_exception_fp_ieee_underflow 0
		.amdhsa_exception_fp_ieee_inexact 0
		.amdhsa_exception_int_div_zero 0
	.end_amdhsa_kernel
	.section	.text._ZN9rocsparseL16sddmm_ell_kernelILi512ELi2E21rocsparse_complex_numIdEllS2_S2_S2_EEv20rocsparse_operation_S3_16rocsparse_order_S4_T3_S5_S5_T2_NS_24const_host_device_scalarIT1_EEPKT4_lPKT5_lS9_PT6_PKS5_21rocsparse_index_base_b,"axG",@progbits,_ZN9rocsparseL16sddmm_ell_kernelILi512ELi2E21rocsparse_complex_numIdEllS2_S2_S2_EEv20rocsparse_operation_S3_16rocsparse_order_S4_T3_S5_S5_T2_NS_24const_host_device_scalarIT1_EEPKT4_lPKT5_lS9_PT6_PKS5_21rocsparse_index_base_b,comdat
.Lfunc_end58:
	.size	_ZN9rocsparseL16sddmm_ell_kernelILi512ELi2E21rocsparse_complex_numIdEllS2_S2_S2_EEv20rocsparse_operation_S3_16rocsparse_order_S4_T3_S5_S5_T2_NS_24const_host_device_scalarIT1_EEPKT4_lPKT5_lS9_PT6_PKS5_21rocsparse_index_base_b, .Lfunc_end58-_ZN9rocsparseL16sddmm_ell_kernelILi512ELi2E21rocsparse_complex_numIdEllS2_S2_S2_EEv20rocsparse_operation_S3_16rocsparse_order_S4_T3_S5_S5_T2_NS_24const_host_device_scalarIT1_EEPKT4_lPKT5_lS9_PT6_PKS5_21rocsparse_index_base_b
                                        ; -- End function
	.section	.AMDGPU.csdata,"",@progbits
; Kernel info:
; codeLenInByte = 2488
; NumSgprs: 24
; NumVgprs: 33
; ScratchSize: 0
; MemoryBound: 0
; FloatMode: 240
; IeeeMode: 1
; LDSByteSize: 16384 bytes/workgroup (compile time only)
; SGPRBlocks: 2
; VGPRBlocks: 4
; NumSGPRsForWavesPerEU: 24
; NumVGPRsForWavesPerEU: 33
; Occupancy: 16
; WaveLimiterHint : 1
; COMPUTE_PGM_RSRC2:SCRATCH_EN: 0
; COMPUTE_PGM_RSRC2:USER_SGPR: 15
; COMPUTE_PGM_RSRC2:TRAP_HANDLER: 0
; COMPUTE_PGM_RSRC2:TGID_X_EN: 1
; COMPUTE_PGM_RSRC2:TGID_Y_EN: 0
; COMPUTE_PGM_RSRC2:TGID_Z_EN: 0
; COMPUTE_PGM_RSRC2:TIDIG_COMP_CNT: 2
	.section	.text._ZN9rocsparseL16sddmm_ell_kernelILi512ELi1E21rocsparse_complex_numIdEllS2_S2_S2_EEv20rocsparse_operation_S3_16rocsparse_order_S4_T3_S5_S5_T2_NS_24const_host_device_scalarIT1_EEPKT4_lPKT5_lS9_PT6_PKS5_21rocsparse_index_base_b,"axG",@progbits,_ZN9rocsparseL16sddmm_ell_kernelILi512ELi1E21rocsparse_complex_numIdEllS2_S2_S2_EEv20rocsparse_operation_S3_16rocsparse_order_S4_T3_S5_S5_T2_NS_24const_host_device_scalarIT1_EEPKT4_lPKT5_lS9_PT6_PKS5_21rocsparse_index_base_b,comdat
	.globl	_ZN9rocsparseL16sddmm_ell_kernelILi512ELi1E21rocsparse_complex_numIdEllS2_S2_S2_EEv20rocsparse_operation_S3_16rocsparse_order_S4_T3_S5_S5_T2_NS_24const_host_device_scalarIT1_EEPKT4_lPKT5_lS9_PT6_PKS5_21rocsparse_index_base_b ; -- Begin function _ZN9rocsparseL16sddmm_ell_kernelILi512ELi1E21rocsparse_complex_numIdEllS2_S2_S2_EEv20rocsparse_operation_S3_16rocsparse_order_S4_T3_S5_S5_T2_NS_24const_host_device_scalarIT1_EEPKT4_lPKT5_lS9_PT6_PKS5_21rocsparse_index_base_b
	.p2align	8
	.type	_ZN9rocsparseL16sddmm_ell_kernelILi512ELi1E21rocsparse_complex_numIdEllS2_S2_S2_EEv20rocsparse_operation_S3_16rocsparse_order_S4_T3_S5_S5_T2_NS_24const_host_device_scalarIT1_EEPKT4_lPKT5_lS9_PT6_PKS5_21rocsparse_index_base_b,@function
_ZN9rocsparseL16sddmm_ell_kernelILi512ELi1E21rocsparse_complex_numIdEllS2_S2_S2_EEv20rocsparse_operation_S3_16rocsparse_order_S4_T3_S5_S5_T2_NS_24const_host_device_scalarIT1_EEPKT4_lPKT5_lS9_PT6_PKS5_21rocsparse_index_base_b: ; @_ZN9rocsparseL16sddmm_ell_kernelILi512ELi1E21rocsparse_complex_numIdEllS2_S2_S2_EEv20rocsparse_operation_S3_16rocsparse_order_S4_T3_S5_S5_T2_NS_24const_host_device_scalarIT1_EEPKT4_lPKT5_lS9_PT6_PKS5_21rocsparse_index_base_b
; %bb.0:
	s_clause 0x1
	s_load_b64 s[12:13], s[2:3], 0x80
	s_load_b256 s[4:11], s[2:3], 0x20
	s_load_b64 s[20:21], s[0:1], 0x4
	s_mov_b64 s[0:1], src_shared_base
	v_and_b32_e32 v18, 0x3ff, v0
	s_load_b128 s[16:19], s[2:3], 0x58
	v_bfe_u32 v2, v0, 10, 10
	v_bfe_u32 v0, v0, 20, 10
	s_waitcnt lgkmcnt(0)
	s_bitcmp1_b32 s13, 0
	s_cselect_b32 s0, -1, 0
	s_delay_alu instid0(SALU_CYCLE_1) | instskip(SKIP_4) | instid1(SALU_CYCLE_1)
	s_and_b32 vcc_lo, s0, exec_lo
	s_cselect_b32 s13, s1, s9
	s_lshr_b32 s14, s20, 16
	v_mov_b32_e32 v5, s13
	s_mul_i32 s14, s14, s21
	v_mul_lo_u32 v1, s14, v18
	s_delay_alu instid0(VALU_DEP_1) | instskip(SKIP_2) | instid1(VALU_DEP_2)
	v_mad_u32_u24 v1, v2, s21, v1
	s_load_b64 s[20:21], s[2:3], 0x68
	v_dual_mov_b32 v2, s18 :: v_dual_mov_b32 v3, s19
	v_add_lshl_u32 v6, v1, v0, 3
	v_dual_mov_b32 v0, s8 :: v_dual_mov_b32 v1, s9
	s_delay_alu instid0(VALU_DEP_2)
	v_add_nc_u32_e32 v4, 0x3000, v6
	ds_store_2addr_stride64_b64 v6, v[2:3], v[0:1] offset0:16 offset1:24
	v_add_nc_u32_e32 v0, 0x2000, v6
	v_mov_b32_e32 v6, s10
	v_cndmask_b32_e64 v4, s8, v4, s0
	v_mov_b32_e32 v7, s11
	s_xor_b32 s10, s0, -1
	flat_load_b64 v[4:5], v[4:5]
	s_cbranch_vccnz .LBB59_2
; %bb.1:
	v_dual_mov_b32 v1, s8 :: v_dual_mov_b32 v2, s9
	flat_load_b64 v[6:7], v[1:2] offset:8
.LBB59_2:
	s_and_b32 s8, s0, exec_lo
	s_cselect_b32 s1, s1, s19
	v_cndmask_b32_e64 v0, s18, v0, s0
	s_waitcnt lgkmcnt(0)
	v_dual_mov_b32 v1, s1 :: v_dual_mov_b32 v10, s20
	v_mov_b32_e32 v11, s21
	s_and_not1_b32 vcc_lo, exec_lo, s10
	flat_load_b64 v[8:9], v[0:1]
	s_cbranch_vccnz .LBB59_4
; %bb.3:
	v_dual_mov_b32 v0, s18 :: v_dual_mov_b32 v1, s19
	flat_load_b64 v[10:11], v[0:1] offset:8
.LBB59_4:
	s_waitcnt vmcnt(1)
	v_cmp_eq_f64_e32 vcc_lo, 0, v[4:5]
	v_cmp_eq_f64_e64 s0, 0, v[6:7]
	s_delay_alu instid0(VALU_DEP_1)
	s_and_b32 s8, vcc_lo, s0
	s_mov_b32 s0, -1
	s_and_saveexec_b32 s1, s8
	s_cbranch_execz .LBB59_6
; %bb.5:
	s_waitcnt vmcnt(0) lgkmcnt(0)
	v_cmp_neq_f64_e32 vcc_lo, 1.0, v[8:9]
	v_cmp_neq_f64_e64 s0, 0, v[10:11]
	s_delay_alu instid0(VALU_DEP_1) | instskip(NEXT) | instid1(SALU_CYCLE_1)
	s_or_b32 s0, vcc_lo, s0
	s_or_not1_b32 s0, s0, exec_lo
.LBB59_6:
	s_or_b32 exec_lo, exec_lo, s1
	s_and_saveexec_b32 s1, s0
	s_cbranch_execz .LBB59_33
; %bb.7:
	v_lshl_or_b32 v12, s15, 9, v18
	v_mov_b32_e32 v13, 0
	s_delay_alu instid0(VALU_DEP_1)
	v_cmp_gt_i64_e32 vcc_lo, s[6:7], v[12:13]
	s_and_b32 exec_lo, exec_lo, vcc_lo
	s_cbranch_execz .LBB59_33
; %bb.8:
	s_clause 0x1
	s_load_b64 s[8:9], s[2:3], 0x10
	s_load_b64 s[6:7], s[2:3], 0x78
	s_mov_b32 s10, 0
	s_waitcnt lgkmcnt(0)
	s_mov_b32 s11, s9
	s_delay_alu instid0(SALU_CYCLE_1)
	s_cmp_lg_u64 s[10:11], 0
	s_cbranch_scc0 .LBB59_16
; %bb.9:
	s_ashr_i32 s0, s9, 31
	s_delay_alu instid0(SALU_CYCLE_1) | instskip(SKIP_2) | instid1(SALU_CYCLE_1)
	s_add_u32 s14, s8, s0
	s_mov_b32 s1, s0
	s_addc_u32 s15, s9, s0
	s_xor_b64 s[14:15], s[14:15], s[0:1]
	s_delay_alu instid0(SALU_CYCLE_1) | instskip(SKIP_3) | instid1(VALU_DEP_1)
	v_cvt_f32_u32_e32 v0, s14
	v_cvt_f32_u32_e32 v1, s15
	s_sub_u32 s0, 0, s14
	s_subb_u32 s1, 0, s15
	v_fmamk_f32 v0, v1, 0x4f800000, v0
	s_delay_alu instid0(VALU_DEP_1) | instskip(SKIP_2) | instid1(VALU_DEP_1)
	v_rcp_f32_e32 v0, v0
	s_waitcnt_depctr 0xfff
	v_mul_f32_e32 v0, 0x5f7ffffc, v0
	v_mul_f32_e32 v1, 0x2f800000, v0
	s_delay_alu instid0(VALU_DEP_1) | instskip(NEXT) | instid1(VALU_DEP_1)
	v_trunc_f32_e32 v1, v1
	v_fmamk_f32 v0, v1, 0xcf800000, v0
	v_cvt_u32_f32_e32 v1, v1
	s_delay_alu instid0(VALU_DEP_2) | instskip(NEXT) | instid1(VALU_DEP_2)
	v_cvt_u32_f32_e32 v0, v0
	v_mul_lo_u32 v2, s0, v1
	s_delay_alu instid0(VALU_DEP_2) | instskip(SKIP_1) | instid1(VALU_DEP_2)
	v_mul_hi_u32 v3, s0, v0
	v_mul_lo_u32 v14, s1, v0
	v_add_nc_u32_e32 v2, v3, v2
	v_mul_lo_u32 v3, s0, v0
	s_delay_alu instid0(VALU_DEP_2) | instskip(NEXT) | instid1(VALU_DEP_2)
	v_add_nc_u32_e32 v2, v2, v14
	v_mul_hi_u32 v14, v0, v3
	s_delay_alu instid0(VALU_DEP_2)
	v_mul_lo_u32 v15, v0, v2
	v_mul_hi_u32 v16, v0, v2
	v_mul_hi_u32 v17, v1, v3
	v_mul_lo_u32 v3, v1, v3
	v_mul_hi_u32 v19, v1, v2
	v_mul_lo_u32 v2, v1, v2
	v_add_co_u32 v14, vcc_lo, v14, v15
	v_add_co_ci_u32_e32 v15, vcc_lo, 0, v16, vcc_lo
	s_delay_alu instid0(VALU_DEP_2) | instskip(NEXT) | instid1(VALU_DEP_2)
	v_add_co_u32 v3, vcc_lo, v14, v3
	v_add_co_ci_u32_e32 v3, vcc_lo, v15, v17, vcc_lo
	v_add_co_ci_u32_e32 v14, vcc_lo, 0, v19, vcc_lo
	s_delay_alu instid0(VALU_DEP_2) | instskip(NEXT) | instid1(VALU_DEP_2)
	v_add_co_u32 v2, vcc_lo, v3, v2
	v_add_co_ci_u32_e32 v3, vcc_lo, 0, v14, vcc_lo
	s_delay_alu instid0(VALU_DEP_2) | instskip(NEXT) | instid1(VALU_DEP_2)
	v_add_co_u32 v0, vcc_lo, v0, v2
	v_add_co_ci_u32_e32 v1, vcc_lo, v1, v3, vcc_lo
	s_delay_alu instid0(VALU_DEP_2) | instskip(SKIP_1) | instid1(VALU_DEP_3)
	v_mul_hi_u32 v2, s0, v0
	v_mul_lo_u32 v14, s1, v0
	v_mul_lo_u32 v3, s0, v1
	s_delay_alu instid0(VALU_DEP_1) | instskip(SKIP_1) | instid1(VALU_DEP_2)
	v_add_nc_u32_e32 v2, v2, v3
	v_mul_lo_u32 v3, s0, v0
	v_add_nc_u32_e32 v2, v2, v14
	s_delay_alu instid0(VALU_DEP_2) | instskip(NEXT) | instid1(VALU_DEP_2)
	v_mul_hi_u32 v14, v0, v3
	v_mul_lo_u32 v15, v0, v2
	v_mul_hi_u32 v16, v0, v2
	v_mul_hi_u32 v17, v1, v3
	v_mul_lo_u32 v3, v1, v3
	v_mul_hi_u32 v19, v1, v2
	v_mul_lo_u32 v2, v1, v2
	v_add_co_u32 v14, vcc_lo, v14, v15
	v_add_co_ci_u32_e32 v15, vcc_lo, 0, v16, vcc_lo
	s_delay_alu instid0(VALU_DEP_2) | instskip(NEXT) | instid1(VALU_DEP_2)
	v_add_co_u32 v3, vcc_lo, v14, v3
	v_add_co_ci_u32_e32 v3, vcc_lo, v15, v17, vcc_lo
	v_add_co_ci_u32_e32 v14, vcc_lo, 0, v19, vcc_lo
	s_delay_alu instid0(VALU_DEP_2) | instskip(NEXT) | instid1(VALU_DEP_2)
	v_add_co_u32 v2, vcc_lo, v3, v2
	v_add_co_ci_u32_e32 v3, vcc_lo, 0, v14, vcc_lo
	s_delay_alu instid0(VALU_DEP_2) | instskip(NEXT) | instid1(VALU_DEP_2)
	v_add_co_u32 v14, vcc_lo, v0, v2
	v_add_co_ci_u32_e32 v16, vcc_lo, v1, v3, vcc_lo
	s_delay_alu instid0(VALU_DEP_2) | instskip(SKIP_1) | instid1(VALU_DEP_3)
	v_mul_hi_u32 v17, v12, v14
	v_mad_u64_u32 v[2:3], null, 0, v14, 0
	v_mad_u64_u32 v[0:1], null, v12, v16, 0
	;; [unrolled: 1-line block ×3, first 2 shown]
	s_delay_alu instid0(VALU_DEP_2) | instskip(NEXT) | instid1(VALU_DEP_3)
	v_add_co_u32 v0, vcc_lo, v17, v0
	v_add_co_ci_u32_e32 v1, vcc_lo, 0, v1, vcc_lo
	s_delay_alu instid0(VALU_DEP_2) | instskip(NEXT) | instid1(VALU_DEP_2)
	v_add_co_u32 v0, vcc_lo, v0, v2
	v_add_co_ci_u32_e32 v0, vcc_lo, v1, v3, vcc_lo
	v_add_co_ci_u32_e32 v1, vcc_lo, 0, v15, vcc_lo
	s_delay_alu instid0(VALU_DEP_2) | instskip(NEXT) | instid1(VALU_DEP_2)
	v_add_co_u32 v2, vcc_lo, v0, v14
	v_add_co_ci_u32_e32 v3, vcc_lo, 0, v1, vcc_lo
	s_delay_alu instid0(VALU_DEP_2) | instskip(SKIP_1) | instid1(VALU_DEP_3)
	v_mul_lo_u32 v14, s15, v2
	v_mad_u64_u32 v[0:1], null, s14, v2, 0
	v_mul_lo_u32 v2, s14, v3
	s_delay_alu instid0(VALU_DEP_2) | instskip(NEXT) | instid1(VALU_DEP_2)
	v_sub_co_u32 v0, vcc_lo, v12, v0
	v_add3_u32 v1, v1, v2, v14
	s_delay_alu instid0(VALU_DEP_1) | instskip(NEXT) | instid1(VALU_DEP_1)
	v_sub_nc_u32_e32 v2, 0, v1
	v_subrev_co_ci_u32_e64 v2, s0, s15, v2, vcc_lo
	v_sub_co_ci_u32_e32 v1, vcc_lo, 0, v1, vcc_lo
	v_sub_co_u32 v3, vcc_lo, v0, s14
	s_delay_alu instid0(VALU_DEP_1) | instskip(SKIP_3) | instid1(VALU_DEP_3)
	v_subrev_co_ci_u32_e64 v14, s0, 0, v2, vcc_lo
	v_cmp_le_u32_e64 s0, s14, v0
	v_subrev_co_ci_u32_e32 v2, vcc_lo, s15, v2, vcc_lo
	v_cmp_le_u32_e32 vcc_lo, s15, v1
	v_cndmask_b32_e64 v15, 0, -1, s0
	v_cmp_le_u32_e64 s0, s14, v3
	v_cndmask_b32_e64 v19, 0, -1, vcc_lo
	v_cmp_eq_u32_e32 vcc_lo, s15, v14
	s_delay_alu instid0(VALU_DEP_3) | instskip(SKIP_1) | instid1(VALU_DEP_1)
	v_cndmask_b32_e64 v16, 0, -1, s0
	v_cmp_le_u32_e64 s0, s15, v14
	v_cndmask_b32_e64 v17, 0, -1, s0
	v_cmp_eq_u32_e64 s0, s15, v1
	s_delay_alu instid0(VALU_DEP_2) | instskip(SKIP_2) | instid1(VALU_DEP_3)
	v_cndmask_b32_e32 v16, v17, v16, vcc_lo
	v_sub_co_u32 v17, vcc_lo, v3, s14
	v_subrev_co_ci_u32_e32 v2, vcc_lo, 0, v2, vcc_lo
	v_cmp_ne_u32_e32 vcc_lo, 0, v16
	v_cndmask_b32_e64 v15, v19, v15, s0
	s_delay_alu instid0(VALU_DEP_3) | instskip(NEXT) | instid1(VALU_DEP_2)
	v_dual_cndmask_b32 v2, v14, v2 :: v_dual_cndmask_b32 v3, v3, v17
	v_cmp_ne_u32_e32 vcc_lo, 0, v15
	s_delay_alu instid0(VALU_DEP_2) | instskip(NEXT) | instid1(VALU_DEP_1)
	v_dual_cndmask_b32 v0, v0, v3 :: v_dual_cndmask_b32 v1, v1, v2
	v_sub_co_u32 v2, vcc_lo, v0, 0
	s_delay_alu instid0(VALU_DEP_2)
	v_subrev_co_ci_u32_e32 v3, vcc_lo, 0, v1, vcc_lo
	s_and_not1_b32 vcc_lo, exec_lo, s10
	s_cbranch_vccnz .LBB59_11
.LBB59_10:
	v_cvt_f32_u32_e32 v0, s8
	s_sub_i32 s0, 0, s8
	v_mov_b32_e32 v3, 0
	s_delay_alu instid0(VALU_DEP_2) | instskip(SKIP_2) | instid1(VALU_DEP_1)
	v_rcp_iflag_f32_e32 v0, v0
	s_waitcnt_depctr 0xfff
	v_mul_f32_e32 v0, 0x4f7ffffe, v0
	v_cvt_u32_f32_e32 v0, v0
	s_delay_alu instid0(VALU_DEP_1) | instskip(NEXT) | instid1(VALU_DEP_1)
	v_mul_lo_u32 v1, s0, v0
	v_mul_hi_u32 v1, v0, v1
	s_delay_alu instid0(VALU_DEP_1) | instskip(NEXT) | instid1(VALU_DEP_1)
	v_add_nc_u32_e32 v0, v0, v1
	v_mul_hi_u32 v0, v12, v0
	s_delay_alu instid0(VALU_DEP_1) | instskip(NEXT) | instid1(VALU_DEP_1)
	v_mul_lo_u32 v0, v0, s8
	v_sub_nc_u32_e32 v0, v12, v0
	s_delay_alu instid0(VALU_DEP_1) | instskip(SKIP_1) | instid1(VALU_DEP_2)
	v_subrev_nc_u32_e32 v1, s8, v0
	v_cmp_le_u32_e32 vcc_lo, s8, v0
	v_cndmask_b32_e32 v0, v0, v1, vcc_lo
	s_delay_alu instid0(VALU_DEP_1) | instskip(SKIP_1) | instid1(VALU_DEP_2)
	v_subrev_nc_u32_e32 v1, s8, v0
	v_cmp_le_u32_e32 vcc_lo, s8, v0
	v_cndmask_b32_e32 v2, v0, v1, vcc_lo
.LBB59_11:
	v_lshlrev_b64 v[0:1], 3, v[12:13]
	s_delay_alu instid0(VALU_DEP_1) | instskip(NEXT) | instid1(VALU_DEP_2)
	v_add_co_u32 v0, vcc_lo, s6, v0
	v_add_co_ci_u32_e32 v1, vcc_lo, s7, v1, vcc_lo
	global_load_b64 v[0:1], v[0:1], off
	s_waitcnt vmcnt(0)
	v_sub_co_u32 v0, vcc_lo, v0, s12
	v_subrev_co_ci_u32_e32 v1, vcc_lo, 0, v1, vcc_lo
	s_delay_alu instid0(VALU_DEP_1)
	v_cmp_lt_i64_e32 vcc_lo, -1, v[0:1]
	s_and_b32 exec_lo, exec_lo, vcc_lo
	s_cbranch_execz .LBB59_33
; %bb.12:
	s_clause 0x1
	s_load_b128 s[8:11], s[2:3], 0x0
	s_load_b64 s[0:1], s[2:3], 0x48
	s_waitcnt lgkmcnt(0)
	s_cmp_eq_u32 s10, 1
	s_cselect_b32 s12, -1, 0
	s_cmpk_eq_i32 s8, 0x6f
	s_cselect_b32 s13, -1, 0
	s_cmpk_lg_i32 s8, 0x6f
	s_cselect_b32 s6, -1, 0
	s_cmp_lg_u32 s10, 1
	s_cbranch_scc0 .LBB59_17
; %bb.13:
	v_dual_mov_b32 v15, v3 :: v_dual_mov_b32 v14, v2
	s_and_not1_b32 vcc_lo, exec_lo, s13
	s_cbranch_vccnz .LBB59_15
; %bb.14:
	v_mul_lo_u32 v16, v3, s0
	v_mul_lo_u32 v17, v2, s1
	v_mad_u64_u32 v[14:15], null, v2, s0, 0
	s_delay_alu instid0(VALU_DEP_1)
	v_add3_u32 v15, v15, v17, v16
.LBB59_15:
	s_cbranch_execz .LBB59_18
	s_branch .LBB59_21
.LBB59_16:
                                        ; implicit-def: $vgpr2_vgpr3
	s_branch .LBB59_10
.LBB59_17:
                                        ; implicit-def: $vgpr14_vgpr15
.LBB59_18:
	s_and_not1_b32 vcc_lo, exec_lo, s6
	s_cbranch_vccnz .LBB59_20
; %bb.19:
	v_mul_lo_u32 v3, v3, s0
	v_mul_lo_u32 v16, v2, s1
	v_mad_u64_u32 v[14:15], null, v2, s0, 0
	s_delay_alu instid0(VALU_DEP_1) | instskip(NEXT) | instid1(VALU_DEP_1)
	v_add3_u32 v15, v15, v16, v3
	v_dual_mov_b32 v2, v14 :: v_dual_mov_b32 v3, v15
.LBB59_20:
	s_delay_alu instid0(VALU_DEP_1)
	v_dual_mov_b32 v15, v3 :: v_dual_mov_b32 v14, v2
.LBB59_21:
	s_cmp_eq_u32 s11, 1
	s_cselect_b32 s8, -1, 0
	s_cmpk_eq_i32 s9, 0x6f
	s_cselect_b32 s10, -1, 0
	s_cmpk_lg_i32 s9, 0x6f
	s_cselect_b32 s6, -1, 0
	s_cmp_lg_u32 s11, 1
	s_cbranch_scc0 .LBB59_25
; %bb.22:
	v_dual_mov_b32 v17, v1 :: v_dual_mov_b32 v16, v0
	s_and_not1_b32 vcc_lo, exec_lo, s6
	s_cbranch_vccnz .LBB59_24
; %bb.23:
	v_mul_lo_u32 v2, v1, s16
	v_mul_lo_u32 v3, v0, s17
	v_mad_u64_u32 v[16:17], null, v0, s16, 0
	s_delay_alu instid0(VALU_DEP_1)
	v_add3_u32 v17, v17, v3, v2
.LBB59_24:
	s_cbranch_execz .LBB59_26
	s_branch .LBB59_29
.LBB59_25:
                                        ; implicit-def: $vgpr16_vgpr17
.LBB59_26:
	s_and_not1_b32 vcc_lo, exec_lo, s10
	s_cbranch_vccnz .LBB59_28
; %bb.27:
	v_mul_lo_u32 v3, v1, s16
	v_mul_lo_u32 v16, v0, s17
	v_mad_u64_u32 v[1:2], null, v0, s16, 0
	s_delay_alu instid0(VALU_DEP_1) | instskip(NEXT) | instid1(VALU_DEP_2)
	v_add3_u32 v2, v2, v16, v3
	v_mov_b32_e32 v0, v1
	s_delay_alu instid0(VALU_DEP_2)
	v_mov_b32_e32 v1, v2
.LBB59_28:
	s_delay_alu instid0(VALU_DEP_1)
	v_dual_mov_b32 v17, v1 :: v_dual_mov_b32 v16, v0
.LBB59_29:
	s_load_b64 s[6:7], s[2:3], 0x70
	v_mov_b32_e32 v2, 0
	v_mov_b32_e32 v3, 0
	v_cmp_lt_i64_e64 s9, s[4:5], 1
	s_delay_alu instid0(VALU_DEP_2) | instskip(NEXT) | instid1(VALU_DEP_2)
	v_dual_mov_b32 v0, v2 :: v_dual_mov_b32 v1, v3
	s_and_b32 vcc_lo, exec_lo, s9
	s_cbranch_vccnz .LBB59_32
; %bb.30:
	s_clause 0x1
	s_load_b64 s[14:15], s[2:3], 0x50
	s_load_b64 s[2:3], s[2:3], 0x40
	v_lshlrev_b64 v[0:1], 4, v[16:17]
	v_lshlrev_b64 v[14:15], 4, v[14:15]
	v_mov_b32_e32 v2, 0
	s_xor_b32 s9, s13, s12
	v_mov_b32_e32 v3, 0
	s_and_b32 s9, s9, exec_lo
	s_cselect_b32 s13, 0, s1
	s_cselect_b32 s12, 1, s0
	s_xor_b32 s0, s10, s8
	s_delay_alu instid0(SALU_CYCLE_1) | instskip(SKIP_2) | instid1(SALU_CYCLE_1)
	s_and_b32 s0, s0, exec_lo
	s_cselect_b32 s1, s17, 0
	s_cselect_b32 s0, s16, 1
	s_lshl_b64 s[0:1], s[0:1], 4
	s_waitcnt lgkmcnt(0)
	v_add_co_u32 v0, vcc_lo, v0, s14
	v_add_co_ci_u32_e32 v1, vcc_lo, s15, v1, vcc_lo
	v_add_co_u32 v16, vcc_lo, v14, s2
	v_add_co_ci_u32_e32 v17, vcc_lo, s3, v15, vcc_lo
	s_delay_alu instid0(VALU_DEP_4) | instskip(NEXT) | instid1(VALU_DEP_4)
	v_add_co_u32 v14, vcc_lo, v0, 8
	v_add_co_ci_u32_e32 v15, vcc_lo, 0, v1, vcc_lo
	s_delay_alu instid0(VALU_DEP_4) | instskip(NEXT) | instid1(VALU_DEP_4)
	v_add_co_u32 v16, vcc_lo, v16, 8
	v_add_co_ci_u32_e32 v17, vcc_lo, 0, v17, vcc_lo
	v_dual_mov_b32 v0, v2 :: v_dual_mov_b32 v1, v3
	s_lshl_b64 s[2:3], s[12:13], 4
	.p2align	6
.LBB59_31:                              ; =>This Inner Loop Header: Depth=1
	global_load_b128 v[19:22], v[14:15], off offset:-8
	global_load_b128 v[23:26], v[16:17], off offset:-8
	v_add_co_u32 v14, vcc_lo, v14, s0
	v_add_co_ci_u32_e32 v15, vcc_lo, s1, v15, vcc_lo
	v_add_co_u32 v16, vcc_lo, v16, s2
	s_add_u32 s4, s4, -1
	v_add_co_ci_u32_e32 v17, vcc_lo, s3, v17, vcc_lo
	s_addc_u32 s5, s5, -1
	s_delay_alu instid0(SALU_CYCLE_1) | instskip(SKIP_3) | instid1(VALU_DEP_2)
	s_cmp_eq_u64 s[4:5], 0
	s_waitcnt vmcnt(0)
	v_mul_f64 v[27:28], v[21:22], -v[25:26]
	v_mul_f64 v[21:22], v[21:22], v[23:24]
	v_fma_f64 v[23:24], v[23:24], v[19:20], v[27:28]
	s_delay_alu instid0(VALU_DEP_2) | instskip(NEXT) | instid1(VALU_DEP_2)
	v_fma_f64 v[19:20], v[25:26], v[19:20], v[21:22]
	v_add_f64 v[0:1], v[0:1], v[23:24]
	s_delay_alu instid0(VALU_DEP_2)
	v_add_f64 v[2:3], v[2:3], v[19:20]
	s_cbranch_scc0 .LBB59_31
.LBB59_32:
	v_lshlrev_b64 v[12:13], 4, v[12:13]
	v_lshlrev_b32_e32 v14, 4, v18
	ds_store_b128 v14, v[0:3]
	s_waitcnt lgkmcnt(0)
	v_add_co_u32 v16, vcc_lo, s6, v12
	v_add_co_ci_u32_e32 v17, vcc_lo, s7, v13, vcc_lo
	s_barrier
	buffer_gl0_inv
	global_load_b128 v[0:3], v[16:17], off
	ds_load_b128 v[12:15], v14
	s_waitcnt lgkmcnt(0)
	v_mul_f64 v[18:19], v[14:15], -v[6:7]
	v_mul_f64 v[14:15], v[4:5], v[14:15]
	s_delay_alu instid0(VALU_DEP_2) | instskip(NEXT) | instid1(VALU_DEP_2)
	v_fma_f64 v[4:5], v[4:5], v[12:13], v[18:19]
	v_fma_f64 v[6:7], v[6:7], v[12:13], v[14:15]
	s_waitcnt vmcnt(0)
	v_mul_f64 v[20:21], v[10:11], -v[2:3]
	v_mul_f64 v[10:11], v[10:11], v[0:1]
	s_delay_alu instid0(VALU_DEP_2) | instskip(NEXT) | instid1(VALU_DEP_2)
	v_fma_f64 v[0:1], v[0:1], v[8:9], v[20:21]
	v_fma_f64 v[2:3], v[2:3], v[8:9], v[10:11]
	s_delay_alu instid0(VALU_DEP_2) | instskip(NEXT) | instid1(VALU_DEP_2)
	v_add_f64 v[0:1], v[0:1], v[4:5]
	v_add_f64 v[2:3], v[2:3], v[6:7]
	global_store_b128 v[16:17], v[0:3], off
.LBB59_33:
	s_nop 0
	s_sendmsg sendmsg(MSG_DEALLOC_VGPRS)
	s_endpgm
	.section	.rodata,"a",@progbits
	.p2align	6, 0x0
	.amdhsa_kernel _ZN9rocsparseL16sddmm_ell_kernelILi512ELi1E21rocsparse_complex_numIdEllS2_S2_S2_EEv20rocsparse_operation_S3_16rocsparse_order_S4_T3_S5_S5_T2_NS_24const_host_device_scalarIT1_EEPKT4_lPKT5_lS9_PT6_PKS5_21rocsparse_index_base_b
		.amdhsa_group_segment_fixed_size 16384
		.amdhsa_private_segment_fixed_size 0
		.amdhsa_kernarg_size 136
		.amdhsa_user_sgpr_count 15
		.amdhsa_user_sgpr_dispatch_ptr 1
		.amdhsa_user_sgpr_queue_ptr 0
		.amdhsa_user_sgpr_kernarg_segment_ptr 1
		.amdhsa_user_sgpr_dispatch_id 0
		.amdhsa_user_sgpr_private_segment_size 0
		.amdhsa_wavefront_size32 1
		.amdhsa_uses_dynamic_stack 0
		.amdhsa_enable_private_segment 0
		.amdhsa_system_sgpr_workgroup_id_x 1
		.amdhsa_system_sgpr_workgroup_id_y 0
		.amdhsa_system_sgpr_workgroup_id_z 0
		.amdhsa_system_sgpr_workgroup_info 0
		.amdhsa_system_vgpr_workitem_id 2
		.amdhsa_next_free_vgpr 29
		.amdhsa_next_free_sgpr 22
		.amdhsa_reserve_vcc 1
		.amdhsa_float_round_mode_32 0
		.amdhsa_float_round_mode_16_64 0
		.amdhsa_float_denorm_mode_32 3
		.amdhsa_float_denorm_mode_16_64 3
		.amdhsa_dx10_clamp 1
		.amdhsa_ieee_mode 1
		.amdhsa_fp16_overflow 0
		.amdhsa_workgroup_processor_mode 1
		.amdhsa_memory_ordered 1
		.amdhsa_forward_progress 0
		.amdhsa_shared_vgpr_count 0
		.amdhsa_exception_fp_ieee_invalid_op 0
		.amdhsa_exception_fp_denorm_src 0
		.amdhsa_exception_fp_ieee_div_zero 0
		.amdhsa_exception_fp_ieee_overflow 0
		.amdhsa_exception_fp_ieee_underflow 0
		.amdhsa_exception_fp_ieee_inexact 0
		.amdhsa_exception_int_div_zero 0
	.end_amdhsa_kernel
	.section	.text._ZN9rocsparseL16sddmm_ell_kernelILi512ELi1E21rocsparse_complex_numIdEllS2_S2_S2_EEv20rocsparse_operation_S3_16rocsparse_order_S4_T3_S5_S5_T2_NS_24const_host_device_scalarIT1_EEPKT4_lPKT5_lS9_PT6_PKS5_21rocsparse_index_base_b,"axG",@progbits,_ZN9rocsparseL16sddmm_ell_kernelILi512ELi1E21rocsparse_complex_numIdEllS2_S2_S2_EEv20rocsparse_operation_S3_16rocsparse_order_S4_T3_S5_S5_T2_NS_24const_host_device_scalarIT1_EEPKT4_lPKT5_lS9_PT6_PKS5_21rocsparse_index_base_b,comdat
.Lfunc_end59:
	.size	_ZN9rocsparseL16sddmm_ell_kernelILi512ELi1E21rocsparse_complex_numIdEllS2_S2_S2_EEv20rocsparse_operation_S3_16rocsparse_order_S4_T3_S5_S5_T2_NS_24const_host_device_scalarIT1_EEPKT4_lPKT5_lS9_PT6_PKS5_21rocsparse_index_base_b, .Lfunc_end59-_ZN9rocsparseL16sddmm_ell_kernelILi512ELi1E21rocsparse_complex_numIdEllS2_S2_S2_EEv20rocsparse_operation_S3_16rocsparse_order_S4_T3_S5_S5_T2_NS_24const_host_device_scalarIT1_EEPKT4_lPKT5_lS9_PT6_PKS5_21rocsparse_index_base_b
                                        ; -- End function
	.section	.AMDGPU.csdata,"",@progbits
; Kernel info:
; codeLenInByte = 2264
; NumSgprs: 24
; NumVgprs: 29
; ScratchSize: 0
; MemoryBound: 0
; FloatMode: 240
; IeeeMode: 1
; LDSByteSize: 16384 bytes/workgroup (compile time only)
; SGPRBlocks: 2
; VGPRBlocks: 3
; NumSGPRsForWavesPerEU: 24
; NumVGPRsForWavesPerEU: 29
; Occupancy: 16
; WaveLimiterHint : 1
; COMPUTE_PGM_RSRC2:SCRATCH_EN: 0
; COMPUTE_PGM_RSRC2:USER_SGPR: 15
; COMPUTE_PGM_RSRC2:TRAP_HANDLER: 0
; COMPUTE_PGM_RSRC2:TGID_X_EN: 1
; COMPUTE_PGM_RSRC2:TGID_Y_EN: 0
; COMPUTE_PGM_RSRC2:TGID_Z_EN: 0
; COMPUTE_PGM_RSRC2:TIDIG_COMP_CNT: 2
	.section	.text._ZN9rocsparseL16sddmm_ell_kernelILi512ELi8EfiiDF16_DF16_fEEv20rocsparse_operation_S1_16rocsparse_order_S2_T3_S3_S3_T2_NS_24const_host_device_scalarIT1_EEPKT4_lPKT5_lS7_PT6_PKS3_21rocsparse_index_base_b,"axG",@progbits,_ZN9rocsparseL16sddmm_ell_kernelILi512ELi8EfiiDF16_DF16_fEEv20rocsparse_operation_S1_16rocsparse_order_S2_T3_S3_S3_T2_NS_24const_host_device_scalarIT1_EEPKT4_lPKT5_lS7_PT6_PKS3_21rocsparse_index_base_b,comdat
	.globl	_ZN9rocsparseL16sddmm_ell_kernelILi512ELi8EfiiDF16_DF16_fEEv20rocsparse_operation_S1_16rocsparse_order_S2_T3_S3_S3_T2_NS_24const_host_device_scalarIT1_EEPKT4_lPKT5_lS7_PT6_PKS3_21rocsparse_index_base_b ; -- Begin function _ZN9rocsparseL16sddmm_ell_kernelILi512ELi8EfiiDF16_DF16_fEEv20rocsparse_operation_S1_16rocsparse_order_S2_T3_S3_S3_T2_NS_24const_host_device_scalarIT1_EEPKT4_lPKT5_lS7_PT6_PKS3_21rocsparse_index_base_b
	.p2align	8
	.type	_ZN9rocsparseL16sddmm_ell_kernelILi512ELi8EfiiDF16_DF16_fEEv20rocsparse_operation_S1_16rocsparse_order_S2_T3_S3_S3_T2_NS_24const_host_device_scalarIT1_EEPKT4_lPKT5_lS7_PT6_PKS3_21rocsparse_index_base_b,@function
_ZN9rocsparseL16sddmm_ell_kernelILi512ELi8EfiiDF16_DF16_fEEv20rocsparse_operation_S1_16rocsparse_order_S2_T3_S3_S3_T2_NS_24const_host_device_scalarIT1_EEPKT4_lPKT5_lS7_PT6_PKS3_21rocsparse_index_base_b: ; @_ZN9rocsparseL16sddmm_ell_kernelILi512ELi8EfiiDF16_DF16_fEEv20rocsparse_operation_S1_16rocsparse_order_S2_T3_S3_S3_T2_NS_24const_host_device_scalarIT1_EEPKT4_lPKT5_lS7_PT6_PKS3_21rocsparse_index_base_b
; %bb.0:
	s_clause 0x2
	s_load_b64 s[8:9], s[0:1], 0x60
	s_load_b64 s[2:3], s[0:1], 0x20
	s_load_b128 s[4:7], s[0:1], 0x40
	s_waitcnt lgkmcnt(0)
	s_bitcmp1_b32 s9, 0
	s_cselect_b32 s9, -1, 0
	s_delay_alu instid0(SALU_CYCLE_1)
	s_and_b32 vcc_lo, exec_lo, s9
	s_xor_b32 s9, s9, -1
	s_cbranch_vccnz .LBB60_2
; %bb.1:
	s_load_b32 s2, s[2:3], 0x0
.LBB60_2:
	s_and_not1_b32 vcc_lo, exec_lo, s9
	s_cbranch_vccnz .LBB60_4
; %bb.3:
	s_load_b32 s6, s[6:7], 0x0
.LBB60_4:
	s_waitcnt lgkmcnt(0)
	v_cmp_eq_f32_e64 s3, s2, 0
	v_cmp_eq_f32_e64 s7, s6, 1.0
	s_delay_alu instid0(VALU_DEP_1) | instskip(NEXT) | instid1(SALU_CYCLE_1)
	s_and_b32 s3, s3, s7
	s_and_b32 vcc_lo, exec_lo, s3
	s_cbranch_vccnz .LBB60_35
; %bb.5:
	s_load_b64 s[12:13], s[0:1], 0x18
	v_lshrrev_b32_e32 v9, 3, v0
	s_mov_b32 s3, exec_lo
	s_delay_alu instid0(VALU_DEP_1) | instskip(SKIP_1) | instid1(VALU_DEP_1)
	v_lshl_or_b32 v4, s15, 6, v9
	s_waitcnt lgkmcnt(0)
	v_cmpx_gt_i32_e64 s13, v4
	s_cbranch_execz .LBB60_35
; %bb.6:
	s_load_b64 s[10:11], s[0:1], 0x58
	v_ashrrev_i32_e32 v5, 31, v4
	s_mov_b32 s13, -1
	s_delay_alu instid0(VALU_DEP_1) | instskip(SKIP_1) | instid1(VALU_DEP_1)
	v_lshlrev_b64 v[1:2], 2, v[4:5]
	s_waitcnt lgkmcnt(0)
	v_add_co_u32 v6, vcc_lo, s10, v1
	s_delay_alu instid0(VALU_DEP_2) | instskip(SKIP_3) | instid1(VALU_DEP_1)
	v_add_co_ci_u32_e32 v7, vcc_lo, s11, v2, vcc_lo
	global_load_b32 v3, v[6:7], off
	s_waitcnt vmcnt(0)
	v_subrev_nc_u32_e32 v3, s8, v3
	v_cmp_lt_i32_e32 vcc_lo, -1, v3
	s_and_b32 exec_lo, exec_lo, vcc_lo
	s_cbranch_execz .LBB60_35
; %bb.7:
	s_clause 0x1
	s_load_b128 s[8:11], s[0:1], 0x0
	s_load_b32 s14, s[0:1], 0x10
	v_sub_nc_u32_e32 v8, 0, v4
	s_delay_alu instid0(VALU_DEP_1)
	v_max_i32_e32 v4, v4, v8
	s_waitcnt lgkmcnt(0)
	s_cmp_eq_u32 s10, 1
	s_cselect_b32 s3, -1, 0
	s_cmpk_eq_i32 s8, 0x6f
	s_cselect_b32 s7, -1, 0
	s_cmpk_lg_i32 s8, 0x6f
	s_cselect_b32 s8, -1, 0
	s_abs_i32 s16, s14
	s_delay_alu instid0(SALU_CYCLE_1) | instskip(SKIP_2) | instid1(VALU_DEP_1)
	v_cvt_f32_u32_e32 v6, s16
	s_sub_i32 s14, 0, s16
	s_cmp_lg_u32 s10, 1
	v_rcp_iflag_f32_e32 v6, v6
	s_waitcnt_depctr 0xfff
	v_mul_f32_e32 v6, 0x4f7ffffe, v6
	s_delay_alu instid0(VALU_DEP_1) | instskip(NEXT) | instid1(VALU_DEP_1)
	v_cvt_u32_f32_e32 v6, v6
	v_mul_lo_u32 v7, s14, v6
	s_load_b64 s[14:15], s[0:1], 0x30
	s_delay_alu instid0(VALU_DEP_1) | instskip(NEXT) | instid1(VALU_DEP_1)
	v_mul_hi_u32 v7, v6, v7
	v_add_nc_u32_e32 v6, v6, v7
	s_delay_alu instid0(VALU_DEP_1) | instskip(NEXT) | instid1(VALU_DEP_1)
	v_mul_hi_u32 v6, v4, v6
	v_mul_lo_u32 v6, v6, s16
	s_delay_alu instid0(VALU_DEP_1) | instskip(NEXT) | instid1(VALU_DEP_1)
	v_sub_nc_u32_e32 v4, v4, v6
	v_subrev_nc_u32_e32 v6, s16, v4
	v_cmp_le_u32_e32 vcc_lo, s16, v4
	s_delay_alu instid0(VALU_DEP_2) | instskip(NEXT) | instid1(VALU_DEP_1)
	v_cndmask_b32_e32 v4, v4, v6, vcc_lo
	v_subrev_nc_u32_e32 v6, s16, v4
	v_cmp_le_u32_e32 vcc_lo, s16, v4
	s_delay_alu instid0(VALU_DEP_2) | instskip(NEXT) | instid1(VALU_DEP_1)
	v_cndmask_b32_e32 v4, v4, v6, vcc_lo
	v_xor_b32_e32 v4, v4, v5
	s_delay_alu instid0(VALU_DEP_1) | instskip(NEXT) | instid1(VALU_DEP_1)
	v_sub_nc_u32_e32 v7, v4, v5
	v_ashrrev_i32_e32 v8, 31, v7
	s_cbranch_scc0 .LBB60_11
; %bb.8:
	s_delay_alu instid0(VALU_DEP_1)
	v_dual_mov_b32 v5, v7 :: v_dual_mov_b32 v6, v8
	s_and_not1_b32 vcc_lo, exec_lo, s7
	s_cbranch_vccnz .LBB60_10
; %bb.9:
	s_waitcnt lgkmcnt(0)
	v_mul_lo_u32 v4, v8, s14
	v_mul_lo_u32 v10, v7, s15
	v_mad_u64_u32 v[5:6], null, v7, s14, 0
	s_delay_alu instid0(VALU_DEP_1)
	v_add3_u32 v6, v6, v10, v4
.LBB60_10:
	s_cbranch_execz .LBB60_12
	s_branch .LBB60_15
.LBB60_11:
                                        ; implicit-def: $vgpr5_vgpr6
	s_and_not1_b32 vcc_lo, exec_lo, s13
	s_cbranch_vccnz .LBB60_15
.LBB60_12:
	s_and_not1_b32 vcc_lo, exec_lo, s8
	s_cbranch_vccnz .LBB60_14
; %bb.13:
	s_waitcnt lgkmcnt(0)
	v_mul_lo_u32 v6, v8, s14
	v_mul_lo_u32 v8, v7, s15
	v_mad_u64_u32 v[4:5], null, v7, s14, 0
	s_delay_alu instid0(VALU_DEP_1) | instskip(NEXT) | instid1(VALU_DEP_1)
	v_add3_u32 v5, v5, v8, v6
	v_dual_mov_b32 v8, v5 :: v_dual_mov_b32 v7, v4
.LBB60_14:
	s_delay_alu instid0(VALU_DEP_1)
	v_dual_mov_b32 v5, v7 :: v_dual_mov_b32 v6, v8
.LBB60_15:
	s_cmp_eq_u32 s11, 1
	v_mov_b32_e32 v4, 0
	s_cselect_b32 s10, -1, 0
	s_cmpk_eq_i32 s9, 0x6f
	s_cselect_b32 s16, -1, 0
	s_cmpk_lg_i32 s9, 0x6f
	s_cselect_b32 s8, -1, 0
	s_cmp_lg_u32 s11, 1
	s_cbranch_scc0 .LBB60_19
; %bb.16:
	v_dual_mov_b32 v8, v4 :: v_dual_mov_b32 v7, v3
	s_and_not1_b32 vcc_lo, exec_lo, s8
	s_cbranch_vccnz .LBB60_18
; %bb.17:
	v_mad_u64_u32 v[7:8], null, v3, s4, 0
	s_delay_alu instid0(VALU_DEP_1) | instskip(NEXT) | instid1(VALU_DEP_1)
	v_mad_u64_u32 v[10:11], null, v3, s5, v[8:9]
	v_mov_b32_e32 v8, v10
.LBB60_18:
	s_cbranch_execz .LBB60_20
	s_branch .LBB60_23
.LBB60_19:
                                        ; implicit-def: $vgpr7_vgpr8
.LBB60_20:
	s_and_not1_b32 vcc_lo, exec_lo, s16
	s_cbranch_vccnz .LBB60_22
; %bb.21:
	v_mad_u64_u32 v[7:8], null, v3, s4, 0
	s_delay_alu instid0(VALU_DEP_1) | instskip(NEXT) | instid1(VALU_DEP_1)
	v_mov_b32_e32 v4, v8
	v_mad_u64_u32 v[10:11], null, v3, s5, v[4:5]
	s_delay_alu instid0(VALU_DEP_1) | instskip(NEXT) | instid1(VALU_DEP_1)
	v_mov_b32_e32 v8, v10
	v_dual_mov_b32 v3, v7 :: v_dual_mov_b32 v4, v8
.LBB60_22:
	s_delay_alu instid0(VALU_DEP_1)
	v_dual_mov_b32 v8, v4 :: v_dual_mov_b32 v7, v3
.LBB60_23:
	s_load_b64 s[8:9], s[0:1], 0x50
	v_dual_mov_b32 v11, 0 :: v_dual_and_b32 v10, 7, v0
	s_mov_b32 s13, exec_lo
	s_delay_alu instid0(VALU_DEP_1)
	v_cmpx_gt_i32_e64 s12, v10
	s_cbranch_execz .LBB60_27
; %bb.24:
	s_xor_b32 s3, s7, s3
	v_and_b32_e32 v11, 7, v0
	s_and_b32 s3, s3, exec_lo
	s_waitcnt lgkmcnt(0)
	s_cselect_b32 s14, 1, s14
	s_cselect_b32 s15, 0, s15
	s_xor_b32 s3, s16, s10
	v_mad_u64_u32 v[3:4], null, s14, v11, 0
	s_and_b32 s3, s3, exec_lo
	s_cselect_b32 s10, s4, 1
	s_cselect_b32 s11, s5, 0
	s_clause 0x1
	s_load_b64 s[4:5], s[0:1], 0x28
	s_load_b64 s[0:1], s[0:1], 0x38
	v_lshlrev_b64 v[7:8], 1, v[7:8]
	v_mov_b32_e32 v0, v4
	v_mad_u64_u32 v[12:13], null, s10, v11, 0
	s_delay_alu instid0(VALU_DEP_1) | instskip(NEXT) | instid1(VALU_DEP_3)
	v_mov_b32_e32 v4, v13
	v_mad_u64_u32 v[13:14], null, s15, v11, v[0:1]
	s_delay_alu instid0(VALU_DEP_2) | instskip(SKIP_1) | instid1(VALU_DEP_3)
	v_mad_u64_u32 v[14:15], null, s11, v11, v[4:5]
	v_lshlrev_b64 v[5:6], 1, v[5:6]
	v_dual_mov_b32 v11, 0 :: v_dual_mov_b32 v4, v13
	s_lshl_b64 s[10:11], s[10:11], 4
	s_delay_alu instid0(VALU_DEP_3) | instskip(NEXT) | instid1(VALU_DEP_2)
	v_mov_b32_e32 v13, v14
	v_lshlrev_b64 v[3:4], 1, v[3:4]
	s_delay_alu instid0(VALU_DEP_2) | instskip(NEXT) | instid1(VALU_DEP_2)
	v_lshlrev_b64 v[12:13], 1, v[12:13]
	v_add_co_u32 v0, vcc_lo, v3, v5
	s_delay_alu instid0(VALU_DEP_3) | instskip(NEXT) | instid1(VALU_DEP_3)
	v_add_co_ci_u32_e32 v4, vcc_lo, v4, v6, vcc_lo
	v_add_co_u32 v5, vcc_lo, v12, v7
	s_delay_alu instid0(VALU_DEP_4)
	v_add_co_ci_u32_e32 v6, vcc_lo, v13, v8, vcc_lo
	s_waitcnt lgkmcnt(0)
	v_add_co_u32 v3, vcc_lo, s4, v0
	v_add_co_ci_u32_e32 v4, vcc_lo, s5, v4, vcc_lo
	v_add_co_u32 v5, vcc_lo, s0, v5
	v_add_co_ci_u32_e32 v6, vcc_lo, s1, v6, vcc_lo
	v_mov_b32_e32 v0, v10
	s_mov_b32 s1, 0
	s_lshl_b64 s[4:5], s[14:15], 4
	.p2align	6
.LBB60_25:                              ; =>This Inner Loop Header: Depth=1
	global_load_u16 v7, v[3:4], off
	global_load_u16 v8, v[5:6], off
	v_add_co_u32 v3, vcc_lo, v3, s4
	v_add_co_ci_u32_e32 v4, vcc_lo, s5, v4, vcc_lo
	v_add_co_u32 v5, vcc_lo, v5, s10
	v_add_co_ci_u32_e32 v6, vcc_lo, s11, v6, vcc_lo
	s_waitcnt vmcnt(0)
	v_mul_f16_e32 v7, v7, v8
	s_delay_alu instid0(VALU_DEP_1) | instskip(NEXT) | instid1(VALU_DEP_1)
	v_cvt_f32_f16_e32 v7, v7
	v_dual_add_f32 v11, v11, v7 :: v_dual_add_nc_u32 v0, 8, v0
	s_delay_alu instid0(VALU_DEP_1) | instskip(NEXT) | instid1(VALU_DEP_1)
	v_cmp_le_i32_e64 s0, s12, v0
	s_or_b32 s1, s0, s1
	s_delay_alu instid0(SALU_CYCLE_1)
	s_and_not1_b32 exec_lo, exec_lo, s1
	s_cbranch_execnz .LBB60_25
; %bb.26:
	s_or_b32 exec_lo, exec_lo, s1
.LBB60_27:
	s_delay_alu instid0(SALU_CYCLE_1) | instskip(SKIP_2) | instid1(VALU_DEP_1)
	s_or_b32 exec_lo, exec_lo, s13
	v_lshlrev_b32_e32 v0, 2, v10
	s_mov_b32 s0, exec_lo
	v_lshl_or_b32 v0, v9, 5, v0
	ds_store_b32 v0, v11
	s_waitcnt lgkmcnt(0)
	s_barrier
	buffer_gl0_inv
	v_cmpx_gt_u32_e32 4, v10
	s_cbranch_execz .LBB60_29
; %bb.28:
	ds_load_2addr_b32 v[3:4], v0 offset1:4
	s_waitcnt lgkmcnt(0)
	v_add_f32_e32 v3, v4, v3
	ds_store_b32 v0, v3
.LBB60_29:
	s_or_b32 exec_lo, exec_lo, s0
	s_delay_alu instid0(SALU_CYCLE_1)
	s_mov_b32 s0, exec_lo
	s_waitcnt lgkmcnt(0)
	s_barrier
	buffer_gl0_inv
	v_cmpx_gt_u32_e32 2, v10
	s_cbranch_execz .LBB60_31
; %bb.30:
	ds_load_2addr_b32 v[3:4], v0 offset1:2
	s_waitcnt lgkmcnt(0)
	v_add_f32_e32 v3, v4, v3
	ds_store_b32 v0, v3
.LBB60_31:
	s_or_b32 exec_lo, exec_lo, s0
	v_cmp_eq_u32_e32 vcc_lo, 0, v10
	v_lshlrev_b32_e32 v3, 5, v9
	s_waitcnt lgkmcnt(0)
	s_barrier
	buffer_gl0_inv
	s_and_saveexec_b32 s0, vcc_lo
	s_cbranch_execz .LBB60_33
; %bb.32:
	ds_load_b32 v4, v3 offset:4
	ds_load_b32 v5, v0
	s_waitcnt lgkmcnt(0)
	v_add_f32_e32 v4, v4, v5
	ds_store_b32 v0, v4
.LBB60_33:
	s_or_b32 exec_lo, exec_lo, s0
	s_waitcnt lgkmcnt(0)
	s_barrier
	buffer_gl0_inv
	s_and_b32 exec_lo, exec_lo, vcc_lo
	s_cbranch_execz .LBB60_35
; %bb.34:
	v_add_co_u32 v0, vcc_lo, s8, v1
	v_add_co_ci_u32_e32 v1, vcc_lo, s9, v2, vcc_lo
	ds_load_b32 v3, v3
	global_load_b32 v2, v[0:1], off
	s_waitcnt lgkmcnt(0)
	v_mul_f32_e32 v3, s2, v3
	s_waitcnt vmcnt(0)
	s_delay_alu instid0(VALU_DEP_1)
	v_fmac_f32_e32 v3, s6, v2
	global_store_b32 v[0:1], v3, off
.LBB60_35:
	s_nop 0
	s_sendmsg sendmsg(MSG_DEALLOC_VGPRS)
	s_endpgm
	.section	.rodata,"a",@progbits
	.p2align	6, 0x0
	.amdhsa_kernel _ZN9rocsparseL16sddmm_ell_kernelILi512ELi8EfiiDF16_DF16_fEEv20rocsparse_operation_S1_16rocsparse_order_S2_T3_S3_S3_T2_NS_24const_host_device_scalarIT1_EEPKT4_lPKT5_lS7_PT6_PKS3_21rocsparse_index_base_b
		.amdhsa_group_segment_fixed_size 2048
		.amdhsa_private_segment_fixed_size 0
		.amdhsa_kernarg_size 104
		.amdhsa_user_sgpr_count 15
		.amdhsa_user_sgpr_dispatch_ptr 0
		.amdhsa_user_sgpr_queue_ptr 0
		.amdhsa_user_sgpr_kernarg_segment_ptr 1
		.amdhsa_user_sgpr_dispatch_id 0
		.amdhsa_user_sgpr_private_segment_size 0
		.amdhsa_wavefront_size32 1
		.amdhsa_uses_dynamic_stack 0
		.amdhsa_enable_private_segment 0
		.amdhsa_system_sgpr_workgroup_id_x 1
		.amdhsa_system_sgpr_workgroup_id_y 0
		.amdhsa_system_sgpr_workgroup_id_z 0
		.amdhsa_system_sgpr_workgroup_info 0
		.amdhsa_system_vgpr_workitem_id 0
		.amdhsa_next_free_vgpr 16
		.amdhsa_next_free_sgpr 17
		.amdhsa_reserve_vcc 1
		.amdhsa_float_round_mode_32 0
		.amdhsa_float_round_mode_16_64 0
		.amdhsa_float_denorm_mode_32 3
		.amdhsa_float_denorm_mode_16_64 3
		.amdhsa_dx10_clamp 1
		.amdhsa_ieee_mode 1
		.amdhsa_fp16_overflow 0
		.amdhsa_workgroup_processor_mode 1
		.amdhsa_memory_ordered 1
		.amdhsa_forward_progress 0
		.amdhsa_shared_vgpr_count 0
		.amdhsa_exception_fp_ieee_invalid_op 0
		.amdhsa_exception_fp_denorm_src 0
		.amdhsa_exception_fp_ieee_div_zero 0
		.amdhsa_exception_fp_ieee_overflow 0
		.amdhsa_exception_fp_ieee_underflow 0
		.amdhsa_exception_fp_ieee_inexact 0
		.amdhsa_exception_int_div_zero 0
	.end_amdhsa_kernel
	.section	.text._ZN9rocsparseL16sddmm_ell_kernelILi512ELi8EfiiDF16_DF16_fEEv20rocsparse_operation_S1_16rocsparse_order_S2_T3_S3_S3_T2_NS_24const_host_device_scalarIT1_EEPKT4_lPKT5_lS7_PT6_PKS3_21rocsparse_index_base_b,"axG",@progbits,_ZN9rocsparseL16sddmm_ell_kernelILi512ELi8EfiiDF16_DF16_fEEv20rocsparse_operation_S1_16rocsparse_order_S2_T3_S3_S3_T2_NS_24const_host_device_scalarIT1_EEPKT4_lPKT5_lS7_PT6_PKS3_21rocsparse_index_base_b,comdat
.Lfunc_end60:
	.size	_ZN9rocsparseL16sddmm_ell_kernelILi512ELi8EfiiDF16_DF16_fEEv20rocsparse_operation_S1_16rocsparse_order_S2_T3_S3_S3_T2_NS_24const_host_device_scalarIT1_EEPKT4_lPKT5_lS7_PT6_PKS3_21rocsparse_index_base_b, .Lfunc_end60-_ZN9rocsparseL16sddmm_ell_kernelILi512ELi8EfiiDF16_DF16_fEEv20rocsparse_operation_S1_16rocsparse_order_S2_T3_S3_S3_T2_NS_24const_host_device_scalarIT1_EEPKT4_lPKT5_lS7_PT6_PKS3_21rocsparse_index_base_b
                                        ; -- End function
	.section	.AMDGPU.csdata,"",@progbits
; Kernel info:
; codeLenInByte = 1412
; NumSgprs: 19
; NumVgprs: 16
; ScratchSize: 0
; MemoryBound: 0
; FloatMode: 240
; IeeeMode: 1
; LDSByteSize: 2048 bytes/workgroup (compile time only)
; SGPRBlocks: 2
; VGPRBlocks: 1
; NumSGPRsForWavesPerEU: 19
; NumVGPRsForWavesPerEU: 16
; Occupancy: 16
; WaveLimiterHint : 0
; COMPUTE_PGM_RSRC2:SCRATCH_EN: 0
; COMPUTE_PGM_RSRC2:USER_SGPR: 15
; COMPUTE_PGM_RSRC2:TRAP_HANDLER: 0
; COMPUTE_PGM_RSRC2:TGID_X_EN: 1
; COMPUTE_PGM_RSRC2:TGID_Y_EN: 0
; COMPUTE_PGM_RSRC2:TGID_Z_EN: 0
; COMPUTE_PGM_RSRC2:TIDIG_COMP_CNT: 0
	.section	.text._ZN9rocsparseL16sddmm_ell_kernelILi512ELi4EfiiDF16_DF16_fEEv20rocsparse_operation_S1_16rocsparse_order_S2_T3_S3_S3_T2_NS_24const_host_device_scalarIT1_EEPKT4_lPKT5_lS7_PT6_PKS3_21rocsparse_index_base_b,"axG",@progbits,_ZN9rocsparseL16sddmm_ell_kernelILi512ELi4EfiiDF16_DF16_fEEv20rocsparse_operation_S1_16rocsparse_order_S2_T3_S3_S3_T2_NS_24const_host_device_scalarIT1_EEPKT4_lPKT5_lS7_PT6_PKS3_21rocsparse_index_base_b,comdat
	.globl	_ZN9rocsparseL16sddmm_ell_kernelILi512ELi4EfiiDF16_DF16_fEEv20rocsparse_operation_S1_16rocsparse_order_S2_T3_S3_S3_T2_NS_24const_host_device_scalarIT1_EEPKT4_lPKT5_lS7_PT6_PKS3_21rocsparse_index_base_b ; -- Begin function _ZN9rocsparseL16sddmm_ell_kernelILi512ELi4EfiiDF16_DF16_fEEv20rocsparse_operation_S1_16rocsparse_order_S2_T3_S3_S3_T2_NS_24const_host_device_scalarIT1_EEPKT4_lPKT5_lS7_PT6_PKS3_21rocsparse_index_base_b
	.p2align	8
	.type	_ZN9rocsparseL16sddmm_ell_kernelILi512ELi4EfiiDF16_DF16_fEEv20rocsparse_operation_S1_16rocsparse_order_S2_T3_S3_S3_T2_NS_24const_host_device_scalarIT1_EEPKT4_lPKT5_lS7_PT6_PKS3_21rocsparse_index_base_b,@function
_ZN9rocsparseL16sddmm_ell_kernelILi512ELi4EfiiDF16_DF16_fEEv20rocsparse_operation_S1_16rocsparse_order_S2_T3_S3_S3_T2_NS_24const_host_device_scalarIT1_EEPKT4_lPKT5_lS7_PT6_PKS3_21rocsparse_index_base_b: ; @_ZN9rocsparseL16sddmm_ell_kernelILi512ELi4EfiiDF16_DF16_fEEv20rocsparse_operation_S1_16rocsparse_order_S2_T3_S3_S3_T2_NS_24const_host_device_scalarIT1_EEPKT4_lPKT5_lS7_PT6_PKS3_21rocsparse_index_base_b
; %bb.0:
	s_clause 0x2
	s_load_b64 s[8:9], s[0:1], 0x60
	s_load_b64 s[2:3], s[0:1], 0x20
	s_load_b128 s[4:7], s[0:1], 0x40
	s_waitcnt lgkmcnt(0)
	s_bitcmp1_b32 s9, 0
	s_cselect_b32 s9, -1, 0
	s_delay_alu instid0(SALU_CYCLE_1)
	s_and_b32 vcc_lo, exec_lo, s9
	s_xor_b32 s9, s9, -1
	s_cbranch_vccnz .LBB61_2
; %bb.1:
	s_load_b32 s2, s[2:3], 0x0
.LBB61_2:
	s_and_not1_b32 vcc_lo, exec_lo, s9
	s_cbranch_vccnz .LBB61_4
; %bb.3:
	s_load_b32 s6, s[6:7], 0x0
.LBB61_4:
	s_waitcnt lgkmcnt(0)
	v_cmp_eq_f32_e64 s3, s2, 0
	v_cmp_eq_f32_e64 s7, s6, 1.0
	s_delay_alu instid0(VALU_DEP_1) | instskip(NEXT) | instid1(SALU_CYCLE_1)
	s_and_b32 s3, s3, s7
	s_and_b32 vcc_lo, exec_lo, s3
	s_cbranch_vccnz .LBB61_33
; %bb.5:
	s_load_b64 s[12:13], s[0:1], 0x18
	v_lshrrev_b32_e32 v9, 2, v0
	s_mov_b32 s3, exec_lo
	s_delay_alu instid0(VALU_DEP_1) | instskip(SKIP_1) | instid1(VALU_DEP_1)
	v_lshl_or_b32 v4, s15, 7, v9
	s_waitcnt lgkmcnt(0)
	v_cmpx_gt_i32_e64 s13, v4
	s_cbranch_execz .LBB61_33
; %bb.6:
	s_load_b64 s[10:11], s[0:1], 0x58
	v_ashrrev_i32_e32 v5, 31, v4
	s_mov_b32 s13, -1
	s_delay_alu instid0(VALU_DEP_1) | instskip(SKIP_1) | instid1(VALU_DEP_1)
	v_lshlrev_b64 v[1:2], 2, v[4:5]
	s_waitcnt lgkmcnt(0)
	v_add_co_u32 v6, vcc_lo, s10, v1
	s_delay_alu instid0(VALU_DEP_2) | instskip(SKIP_3) | instid1(VALU_DEP_1)
	v_add_co_ci_u32_e32 v7, vcc_lo, s11, v2, vcc_lo
	global_load_b32 v3, v[6:7], off
	s_waitcnt vmcnt(0)
	v_subrev_nc_u32_e32 v3, s8, v3
	v_cmp_lt_i32_e32 vcc_lo, -1, v3
	s_and_b32 exec_lo, exec_lo, vcc_lo
	s_cbranch_execz .LBB61_33
; %bb.7:
	s_clause 0x1
	s_load_b128 s[8:11], s[0:1], 0x0
	s_load_b32 s14, s[0:1], 0x10
	v_sub_nc_u32_e32 v8, 0, v4
	s_delay_alu instid0(VALU_DEP_1)
	v_max_i32_e32 v4, v4, v8
	s_waitcnt lgkmcnt(0)
	s_cmp_eq_u32 s10, 1
	s_cselect_b32 s3, -1, 0
	s_cmpk_eq_i32 s8, 0x6f
	s_cselect_b32 s7, -1, 0
	s_cmpk_lg_i32 s8, 0x6f
	s_cselect_b32 s8, -1, 0
	s_abs_i32 s16, s14
	s_delay_alu instid0(SALU_CYCLE_1) | instskip(SKIP_2) | instid1(VALU_DEP_1)
	v_cvt_f32_u32_e32 v6, s16
	s_sub_i32 s14, 0, s16
	s_cmp_lg_u32 s10, 1
	v_rcp_iflag_f32_e32 v6, v6
	s_waitcnt_depctr 0xfff
	v_mul_f32_e32 v6, 0x4f7ffffe, v6
	s_delay_alu instid0(VALU_DEP_1) | instskip(NEXT) | instid1(VALU_DEP_1)
	v_cvt_u32_f32_e32 v6, v6
	v_mul_lo_u32 v7, s14, v6
	s_load_b64 s[14:15], s[0:1], 0x30
	s_delay_alu instid0(VALU_DEP_1) | instskip(NEXT) | instid1(VALU_DEP_1)
	v_mul_hi_u32 v7, v6, v7
	v_add_nc_u32_e32 v6, v6, v7
	s_delay_alu instid0(VALU_DEP_1) | instskip(NEXT) | instid1(VALU_DEP_1)
	v_mul_hi_u32 v6, v4, v6
	v_mul_lo_u32 v6, v6, s16
	s_delay_alu instid0(VALU_DEP_1) | instskip(NEXT) | instid1(VALU_DEP_1)
	v_sub_nc_u32_e32 v4, v4, v6
	v_subrev_nc_u32_e32 v6, s16, v4
	v_cmp_le_u32_e32 vcc_lo, s16, v4
	s_delay_alu instid0(VALU_DEP_2) | instskip(NEXT) | instid1(VALU_DEP_1)
	v_cndmask_b32_e32 v4, v4, v6, vcc_lo
	v_subrev_nc_u32_e32 v6, s16, v4
	v_cmp_le_u32_e32 vcc_lo, s16, v4
	s_delay_alu instid0(VALU_DEP_2) | instskip(NEXT) | instid1(VALU_DEP_1)
	v_cndmask_b32_e32 v4, v4, v6, vcc_lo
	v_xor_b32_e32 v4, v4, v5
	s_delay_alu instid0(VALU_DEP_1) | instskip(NEXT) | instid1(VALU_DEP_1)
	v_sub_nc_u32_e32 v7, v4, v5
	v_ashrrev_i32_e32 v8, 31, v7
	s_cbranch_scc0 .LBB61_11
; %bb.8:
	s_delay_alu instid0(VALU_DEP_1)
	v_dual_mov_b32 v5, v7 :: v_dual_mov_b32 v6, v8
	s_and_not1_b32 vcc_lo, exec_lo, s7
	s_cbranch_vccnz .LBB61_10
; %bb.9:
	s_waitcnt lgkmcnt(0)
	v_mul_lo_u32 v4, v8, s14
	v_mul_lo_u32 v10, v7, s15
	v_mad_u64_u32 v[5:6], null, v7, s14, 0
	s_delay_alu instid0(VALU_DEP_1)
	v_add3_u32 v6, v6, v10, v4
.LBB61_10:
	s_cbranch_execz .LBB61_12
	s_branch .LBB61_15
.LBB61_11:
                                        ; implicit-def: $vgpr5_vgpr6
	s_and_not1_b32 vcc_lo, exec_lo, s13
	s_cbranch_vccnz .LBB61_15
.LBB61_12:
	s_and_not1_b32 vcc_lo, exec_lo, s8
	s_cbranch_vccnz .LBB61_14
; %bb.13:
	s_waitcnt lgkmcnt(0)
	v_mul_lo_u32 v6, v8, s14
	v_mul_lo_u32 v8, v7, s15
	v_mad_u64_u32 v[4:5], null, v7, s14, 0
	s_delay_alu instid0(VALU_DEP_1) | instskip(NEXT) | instid1(VALU_DEP_1)
	v_add3_u32 v5, v5, v8, v6
	v_dual_mov_b32 v8, v5 :: v_dual_mov_b32 v7, v4
.LBB61_14:
	s_delay_alu instid0(VALU_DEP_1)
	v_dual_mov_b32 v5, v7 :: v_dual_mov_b32 v6, v8
.LBB61_15:
	s_cmp_eq_u32 s11, 1
	v_mov_b32_e32 v4, 0
	s_cselect_b32 s10, -1, 0
	s_cmpk_eq_i32 s9, 0x6f
	s_cselect_b32 s16, -1, 0
	s_cmpk_lg_i32 s9, 0x6f
	s_cselect_b32 s8, -1, 0
	s_cmp_lg_u32 s11, 1
	s_cbranch_scc0 .LBB61_19
; %bb.16:
	v_dual_mov_b32 v8, v4 :: v_dual_mov_b32 v7, v3
	s_and_not1_b32 vcc_lo, exec_lo, s8
	s_cbranch_vccnz .LBB61_18
; %bb.17:
	v_mad_u64_u32 v[7:8], null, v3, s4, 0
	s_delay_alu instid0(VALU_DEP_1) | instskip(NEXT) | instid1(VALU_DEP_1)
	v_mad_u64_u32 v[10:11], null, v3, s5, v[8:9]
	v_mov_b32_e32 v8, v10
.LBB61_18:
	s_cbranch_execz .LBB61_20
	s_branch .LBB61_23
.LBB61_19:
                                        ; implicit-def: $vgpr7_vgpr8
.LBB61_20:
	s_and_not1_b32 vcc_lo, exec_lo, s16
	s_cbranch_vccnz .LBB61_22
; %bb.21:
	v_mad_u64_u32 v[7:8], null, v3, s4, 0
	s_delay_alu instid0(VALU_DEP_1) | instskip(NEXT) | instid1(VALU_DEP_1)
	v_mov_b32_e32 v4, v8
	v_mad_u64_u32 v[10:11], null, v3, s5, v[4:5]
	s_delay_alu instid0(VALU_DEP_1) | instskip(NEXT) | instid1(VALU_DEP_1)
	v_mov_b32_e32 v8, v10
	v_dual_mov_b32 v3, v7 :: v_dual_mov_b32 v4, v8
.LBB61_22:
	s_delay_alu instid0(VALU_DEP_1)
	v_dual_mov_b32 v8, v4 :: v_dual_mov_b32 v7, v3
.LBB61_23:
	s_load_b64 s[8:9], s[0:1], 0x50
	v_dual_mov_b32 v11, 0 :: v_dual_and_b32 v10, 3, v0
	s_mov_b32 s13, exec_lo
	s_delay_alu instid0(VALU_DEP_1)
	v_cmpx_gt_i32_e64 s12, v10
	s_cbranch_execz .LBB61_27
; %bb.24:
	s_xor_b32 s3, s7, s3
	v_and_b32_e32 v11, 3, v0
	s_and_b32 s3, s3, exec_lo
	s_waitcnt lgkmcnt(0)
	s_cselect_b32 s14, 1, s14
	s_cselect_b32 s15, 0, s15
	s_xor_b32 s3, s16, s10
	v_mad_u64_u32 v[3:4], null, s14, v11, 0
	s_and_b32 s3, s3, exec_lo
	s_cselect_b32 s10, s4, 1
	s_cselect_b32 s11, s5, 0
	s_clause 0x1
	s_load_b64 s[4:5], s[0:1], 0x28
	s_load_b64 s[0:1], s[0:1], 0x38
	v_lshlrev_b64 v[7:8], 1, v[7:8]
	v_mov_b32_e32 v0, v4
	v_mad_u64_u32 v[12:13], null, s10, v11, 0
	s_delay_alu instid0(VALU_DEP_1) | instskip(NEXT) | instid1(VALU_DEP_3)
	v_mov_b32_e32 v4, v13
	v_mad_u64_u32 v[13:14], null, s15, v11, v[0:1]
	s_delay_alu instid0(VALU_DEP_2) | instskip(SKIP_1) | instid1(VALU_DEP_3)
	v_mad_u64_u32 v[14:15], null, s11, v11, v[4:5]
	v_lshlrev_b64 v[5:6], 1, v[5:6]
	v_dual_mov_b32 v11, 0 :: v_dual_mov_b32 v4, v13
	s_lshl_b64 s[10:11], s[10:11], 3
	s_delay_alu instid0(VALU_DEP_3) | instskip(NEXT) | instid1(VALU_DEP_2)
	v_mov_b32_e32 v13, v14
	v_lshlrev_b64 v[3:4], 1, v[3:4]
	s_delay_alu instid0(VALU_DEP_2) | instskip(NEXT) | instid1(VALU_DEP_2)
	v_lshlrev_b64 v[12:13], 1, v[12:13]
	v_add_co_u32 v0, vcc_lo, v3, v5
	s_delay_alu instid0(VALU_DEP_3) | instskip(NEXT) | instid1(VALU_DEP_3)
	v_add_co_ci_u32_e32 v4, vcc_lo, v4, v6, vcc_lo
	v_add_co_u32 v5, vcc_lo, v12, v7
	s_delay_alu instid0(VALU_DEP_4)
	v_add_co_ci_u32_e32 v6, vcc_lo, v13, v8, vcc_lo
	s_waitcnt lgkmcnt(0)
	v_add_co_u32 v3, vcc_lo, s4, v0
	v_add_co_ci_u32_e32 v4, vcc_lo, s5, v4, vcc_lo
	v_add_co_u32 v5, vcc_lo, s0, v5
	v_add_co_ci_u32_e32 v6, vcc_lo, s1, v6, vcc_lo
	v_mov_b32_e32 v0, v10
	s_mov_b32 s1, 0
	s_lshl_b64 s[4:5], s[14:15], 3
	.p2align	6
.LBB61_25:                              ; =>This Inner Loop Header: Depth=1
	global_load_u16 v7, v[3:4], off
	global_load_u16 v8, v[5:6], off
	v_add_co_u32 v3, vcc_lo, v3, s4
	v_add_co_ci_u32_e32 v4, vcc_lo, s5, v4, vcc_lo
	v_add_co_u32 v5, vcc_lo, v5, s10
	v_add_co_ci_u32_e32 v6, vcc_lo, s11, v6, vcc_lo
	s_waitcnt vmcnt(0)
	v_mul_f16_e32 v7, v7, v8
	s_delay_alu instid0(VALU_DEP_1) | instskip(NEXT) | instid1(VALU_DEP_1)
	v_cvt_f32_f16_e32 v7, v7
	v_dual_add_f32 v11, v11, v7 :: v_dual_add_nc_u32 v0, 4, v0
	s_delay_alu instid0(VALU_DEP_1) | instskip(NEXT) | instid1(VALU_DEP_1)
	v_cmp_le_i32_e64 s0, s12, v0
	s_or_b32 s1, s0, s1
	s_delay_alu instid0(SALU_CYCLE_1)
	s_and_not1_b32 exec_lo, exec_lo, s1
	s_cbranch_execnz .LBB61_25
; %bb.26:
	s_or_b32 exec_lo, exec_lo, s1
.LBB61_27:
	s_delay_alu instid0(SALU_CYCLE_1) | instskip(SKIP_2) | instid1(VALU_DEP_1)
	s_or_b32 exec_lo, exec_lo, s13
	v_lshlrev_b32_e32 v0, 2, v10
	s_mov_b32 s0, exec_lo
	v_lshl_or_b32 v0, v9, 4, v0
	ds_store_b32 v0, v11
	s_waitcnt lgkmcnt(0)
	s_barrier
	buffer_gl0_inv
	v_cmpx_gt_u32_e32 2, v10
	s_cbranch_execz .LBB61_29
; %bb.28:
	ds_load_2addr_b32 v[3:4], v0 offset1:2
	s_waitcnt lgkmcnt(0)
	v_add_f32_e32 v3, v4, v3
	ds_store_b32 v0, v3
.LBB61_29:
	s_or_b32 exec_lo, exec_lo, s0
	v_cmp_eq_u32_e32 vcc_lo, 0, v10
	v_lshlrev_b32_e32 v3, 4, v9
	s_waitcnt lgkmcnt(0)
	s_barrier
	buffer_gl0_inv
	s_and_saveexec_b32 s0, vcc_lo
	s_cbranch_execz .LBB61_31
; %bb.30:
	ds_load_b32 v4, v3 offset:4
	ds_load_b32 v5, v0
	s_waitcnt lgkmcnt(0)
	v_add_f32_e32 v4, v4, v5
	ds_store_b32 v0, v4
.LBB61_31:
	s_or_b32 exec_lo, exec_lo, s0
	s_waitcnt lgkmcnt(0)
	s_barrier
	buffer_gl0_inv
	s_and_b32 exec_lo, exec_lo, vcc_lo
	s_cbranch_execz .LBB61_33
; %bb.32:
	v_add_co_u32 v0, vcc_lo, s8, v1
	v_add_co_ci_u32_e32 v1, vcc_lo, s9, v2, vcc_lo
	ds_load_b32 v3, v3
	global_load_b32 v2, v[0:1], off
	s_waitcnt lgkmcnt(0)
	v_mul_f32_e32 v3, s2, v3
	s_waitcnt vmcnt(0)
	s_delay_alu instid0(VALU_DEP_1)
	v_fmac_f32_e32 v3, s6, v2
	global_store_b32 v[0:1], v3, off
.LBB61_33:
	s_nop 0
	s_sendmsg sendmsg(MSG_DEALLOC_VGPRS)
	s_endpgm
	.section	.rodata,"a",@progbits
	.p2align	6, 0x0
	.amdhsa_kernel _ZN9rocsparseL16sddmm_ell_kernelILi512ELi4EfiiDF16_DF16_fEEv20rocsparse_operation_S1_16rocsparse_order_S2_T3_S3_S3_T2_NS_24const_host_device_scalarIT1_EEPKT4_lPKT5_lS7_PT6_PKS3_21rocsparse_index_base_b
		.amdhsa_group_segment_fixed_size 2048
		.amdhsa_private_segment_fixed_size 0
		.amdhsa_kernarg_size 104
		.amdhsa_user_sgpr_count 15
		.amdhsa_user_sgpr_dispatch_ptr 0
		.amdhsa_user_sgpr_queue_ptr 0
		.amdhsa_user_sgpr_kernarg_segment_ptr 1
		.amdhsa_user_sgpr_dispatch_id 0
		.amdhsa_user_sgpr_private_segment_size 0
		.amdhsa_wavefront_size32 1
		.amdhsa_uses_dynamic_stack 0
		.amdhsa_enable_private_segment 0
		.amdhsa_system_sgpr_workgroup_id_x 1
		.amdhsa_system_sgpr_workgroup_id_y 0
		.amdhsa_system_sgpr_workgroup_id_z 0
		.amdhsa_system_sgpr_workgroup_info 0
		.amdhsa_system_vgpr_workitem_id 0
		.amdhsa_next_free_vgpr 16
		.amdhsa_next_free_sgpr 17
		.amdhsa_reserve_vcc 1
		.amdhsa_float_round_mode_32 0
		.amdhsa_float_round_mode_16_64 0
		.amdhsa_float_denorm_mode_32 3
		.amdhsa_float_denorm_mode_16_64 3
		.amdhsa_dx10_clamp 1
		.amdhsa_ieee_mode 1
		.amdhsa_fp16_overflow 0
		.amdhsa_workgroup_processor_mode 1
		.amdhsa_memory_ordered 1
		.amdhsa_forward_progress 0
		.amdhsa_shared_vgpr_count 0
		.amdhsa_exception_fp_ieee_invalid_op 0
		.amdhsa_exception_fp_denorm_src 0
		.amdhsa_exception_fp_ieee_div_zero 0
		.amdhsa_exception_fp_ieee_overflow 0
		.amdhsa_exception_fp_ieee_underflow 0
		.amdhsa_exception_fp_ieee_inexact 0
		.amdhsa_exception_int_div_zero 0
	.end_amdhsa_kernel
	.section	.text._ZN9rocsparseL16sddmm_ell_kernelILi512ELi4EfiiDF16_DF16_fEEv20rocsparse_operation_S1_16rocsparse_order_S2_T3_S3_S3_T2_NS_24const_host_device_scalarIT1_EEPKT4_lPKT5_lS7_PT6_PKS3_21rocsparse_index_base_b,"axG",@progbits,_ZN9rocsparseL16sddmm_ell_kernelILi512ELi4EfiiDF16_DF16_fEEv20rocsparse_operation_S1_16rocsparse_order_S2_T3_S3_S3_T2_NS_24const_host_device_scalarIT1_EEPKT4_lPKT5_lS7_PT6_PKS3_21rocsparse_index_base_b,comdat
.Lfunc_end61:
	.size	_ZN9rocsparseL16sddmm_ell_kernelILi512ELi4EfiiDF16_DF16_fEEv20rocsparse_operation_S1_16rocsparse_order_S2_T3_S3_S3_T2_NS_24const_host_device_scalarIT1_EEPKT4_lPKT5_lS7_PT6_PKS3_21rocsparse_index_base_b, .Lfunc_end61-_ZN9rocsparseL16sddmm_ell_kernelILi512ELi4EfiiDF16_DF16_fEEv20rocsparse_operation_S1_16rocsparse_order_S2_T3_S3_S3_T2_NS_24const_host_device_scalarIT1_EEPKT4_lPKT5_lS7_PT6_PKS3_21rocsparse_index_base_b
                                        ; -- End function
	.section	.AMDGPU.csdata,"",@progbits
; Kernel info:
; codeLenInByte = 1352
; NumSgprs: 19
; NumVgprs: 16
; ScratchSize: 0
; MemoryBound: 0
; FloatMode: 240
; IeeeMode: 1
; LDSByteSize: 2048 bytes/workgroup (compile time only)
; SGPRBlocks: 2
; VGPRBlocks: 1
; NumSGPRsForWavesPerEU: 19
; NumVGPRsForWavesPerEU: 16
; Occupancy: 16
; WaveLimiterHint : 0
; COMPUTE_PGM_RSRC2:SCRATCH_EN: 0
; COMPUTE_PGM_RSRC2:USER_SGPR: 15
; COMPUTE_PGM_RSRC2:TRAP_HANDLER: 0
; COMPUTE_PGM_RSRC2:TGID_X_EN: 1
; COMPUTE_PGM_RSRC2:TGID_Y_EN: 0
; COMPUTE_PGM_RSRC2:TGID_Z_EN: 0
; COMPUTE_PGM_RSRC2:TIDIG_COMP_CNT: 0
	.section	.text._ZN9rocsparseL16sddmm_ell_kernelILi512ELi2EfiiDF16_DF16_fEEv20rocsparse_operation_S1_16rocsparse_order_S2_T3_S3_S3_T2_NS_24const_host_device_scalarIT1_EEPKT4_lPKT5_lS7_PT6_PKS3_21rocsparse_index_base_b,"axG",@progbits,_ZN9rocsparseL16sddmm_ell_kernelILi512ELi2EfiiDF16_DF16_fEEv20rocsparse_operation_S1_16rocsparse_order_S2_T3_S3_S3_T2_NS_24const_host_device_scalarIT1_EEPKT4_lPKT5_lS7_PT6_PKS3_21rocsparse_index_base_b,comdat
	.globl	_ZN9rocsparseL16sddmm_ell_kernelILi512ELi2EfiiDF16_DF16_fEEv20rocsparse_operation_S1_16rocsparse_order_S2_T3_S3_S3_T2_NS_24const_host_device_scalarIT1_EEPKT4_lPKT5_lS7_PT6_PKS3_21rocsparse_index_base_b ; -- Begin function _ZN9rocsparseL16sddmm_ell_kernelILi512ELi2EfiiDF16_DF16_fEEv20rocsparse_operation_S1_16rocsparse_order_S2_T3_S3_S3_T2_NS_24const_host_device_scalarIT1_EEPKT4_lPKT5_lS7_PT6_PKS3_21rocsparse_index_base_b
	.p2align	8
	.type	_ZN9rocsparseL16sddmm_ell_kernelILi512ELi2EfiiDF16_DF16_fEEv20rocsparse_operation_S1_16rocsparse_order_S2_T3_S3_S3_T2_NS_24const_host_device_scalarIT1_EEPKT4_lPKT5_lS7_PT6_PKS3_21rocsparse_index_base_b,@function
_ZN9rocsparseL16sddmm_ell_kernelILi512ELi2EfiiDF16_DF16_fEEv20rocsparse_operation_S1_16rocsparse_order_S2_T3_S3_S3_T2_NS_24const_host_device_scalarIT1_EEPKT4_lPKT5_lS7_PT6_PKS3_21rocsparse_index_base_b: ; @_ZN9rocsparseL16sddmm_ell_kernelILi512ELi2EfiiDF16_DF16_fEEv20rocsparse_operation_S1_16rocsparse_order_S2_T3_S3_S3_T2_NS_24const_host_device_scalarIT1_EEPKT4_lPKT5_lS7_PT6_PKS3_21rocsparse_index_base_b
; %bb.0:
	s_clause 0x2
	s_load_b64 s[8:9], s[0:1], 0x60
	s_load_b64 s[2:3], s[0:1], 0x20
	s_load_b128 s[4:7], s[0:1], 0x40
	s_waitcnt lgkmcnt(0)
	s_bitcmp1_b32 s9, 0
	s_cselect_b32 s9, -1, 0
	s_delay_alu instid0(SALU_CYCLE_1)
	s_and_b32 vcc_lo, exec_lo, s9
	s_xor_b32 s9, s9, -1
	s_cbranch_vccnz .LBB62_2
; %bb.1:
	s_load_b32 s2, s[2:3], 0x0
.LBB62_2:
	s_and_not1_b32 vcc_lo, exec_lo, s9
	s_cbranch_vccnz .LBB62_4
; %bb.3:
	s_load_b32 s6, s[6:7], 0x0
.LBB62_4:
	s_waitcnt lgkmcnt(0)
	v_cmp_eq_f32_e64 s3, s2, 0
	v_cmp_eq_f32_e64 s7, s6, 1.0
	s_delay_alu instid0(VALU_DEP_1) | instskip(NEXT) | instid1(SALU_CYCLE_1)
	s_and_b32 s3, s3, s7
	s_and_b32 vcc_lo, exec_lo, s3
	s_cbranch_vccnz .LBB62_31
; %bb.5:
	s_load_b64 s[12:13], s[0:1], 0x18
	v_lshrrev_b32_e32 v9, 1, v0
	s_mov_b32 s3, exec_lo
	s_delay_alu instid0(VALU_DEP_1) | instskip(SKIP_1) | instid1(VALU_DEP_1)
	v_lshl_or_b32 v4, s15, 8, v9
	s_waitcnt lgkmcnt(0)
	v_cmpx_gt_i32_e64 s13, v4
	s_cbranch_execz .LBB62_31
; %bb.6:
	s_load_b64 s[10:11], s[0:1], 0x58
	v_ashrrev_i32_e32 v5, 31, v4
	s_mov_b32 s13, -1
	s_delay_alu instid0(VALU_DEP_1) | instskip(SKIP_1) | instid1(VALU_DEP_1)
	v_lshlrev_b64 v[1:2], 2, v[4:5]
	s_waitcnt lgkmcnt(0)
	v_add_co_u32 v6, vcc_lo, s10, v1
	s_delay_alu instid0(VALU_DEP_2) | instskip(SKIP_3) | instid1(VALU_DEP_1)
	v_add_co_ci_u32_e32 v7, vcc_lo, s11, v2, vcc_lo
	global_load_b32 v3, v[6:7], off
	s_waitcnt vmcnt(0)
	v_subrev_nc_u32_e32 v3, s8, v3
	v_cmp_lt_i32_e32 vcc_lo, -1, v3
	s_and_b32 exec_lo, exec_lo, vcc_lo
	s_cbranch_execz .LBB62_31
; %bb.7:
	s_clause 0x1
	s_load_b128 s[8:11], s[0:1], 0x0
	s_load_b32 s14, s[0:1], 0x10
	v_sub_nc_u32_e32 v8, 0, v4
	s_delay_alu instid0(VALU_DEP_1)
	v_max_i32_e32 v4, v4, v8
	s_waitcnt lgkmcnt(0)
	s_cmp_eq_u32 s10, 1
	s_cselect_b32 s3, -1, 0
	s_cmpk_eq_i32 s8, 0x6f
	s_cselect_b32 s7, -1, 0
	s_cmpk_lg_i32 s8, 0x6f
	s_cselect_b32 s8, -1, 0
	s_abs_i32 s16, s14
	s_delay_alu instid0(SALU_CYCLE_1) | instskip(SKIP_2) | instid1(VALU_DEP_1)
	v_cvt_f32_u32_e32 v6, s16
	s_sub_i32 s14, 0, s16
	s_cmp_lg_u32 s10, 1
	v_rcp_iflag_f32_e32 v6, v6
	s_waitcnt_depctr 0xfff
	v_mul_f32_e32 v6, 0x4f7ffffe, v6
	s_delay_alu instid0(VALU_DEP_1) | instskip(NEXT) | instid1(VALU_DEP_1)
	v_cvt_u32_f32_e32 v6, v6
	v_mul_lo_u32 v7, s14, v6
	s_load_b64 s[14:15], s[0:1], 0x30
	s_delay_alu instid0(VALU_DEP_1) | instskip(NEXT) | instid1(VALU_DEP_1)
	v_mul_hi_u32 v7, v6, v7
	v_add_nc_u32_e32 v6, v6, v7
	s_delay_alu instid0(VALU_DEP_1) | instskip(NEXT) | instid1(VALU_DEP_1)
	v_mul_hi_u32 v6, v4, v6
	v_mul_lo_u32 v6, v6, s16
	s_delay_alu instid0(VALU_DEP_1) | instskip(NEXT) | instid1(VALU_DEP_1)
	v_sub_nc_u32_e32 v4, v4, v6
	v_subrev_nc_u32_e32 v6, s16, v4
	v_cmp_le_u32_e32 vcc_lo, s16, v4
	s_delay_alu instid0(VALU_DEP_2) | instskip(NEXT) | instid1(VALU_DEP_1)
	v_cndmask_b32_e32 v4, v4, v6, vcc_lo
	v_subrev_nc_u32_e32 v6, s16, v4
	v_cmp_le_u32_e32 vcc_lo, s16, v4
	s_delay_alu instid0(VALU_DEP_2) | instskip(NEXT) | instid1(VALU_DEP_1)
	v_cndmask_b32_e32 v4, v4, v6, vcc_lo
	v_xor_b32_e32 v4, v4, v5
	s_delay_alu instid0(VALU_DEP_1) | instskip(NEXT) | instid1(VALU_DEP_1)
	v_sub_nc_u32_e32 v7, v4, v5
	v_ashrrev_i32_e32 v8, 31, v7
	s_cbranch_scc0 .LBB62_11
; %bb.8:
	s_delay_alu instid0(VALU_DEP_1)
	v_dual_mov_b32 v5, v7 :: v_dual_mov_b32 v6, v8
	s_and_not1_b32 vcc_lo, exec_lo, s7
	s_cbranch_vccnz .LBB62_10
; %bb.9:
	s_waitcnt lgkmcnt(0)
	v_mul_lo_u32 v4, v8, s14
	v_mul_lo_u32 v10, v7, s15
	v_mad_u64_u32 v[5:6], null, v7, s14, 0
	s_delay_alu instid0(VALU_DEP_1)
	v_add3_u32 v6, v6, v10, v4
.LBB62_10:
	s_cbranch_execz .LBB62_12
	s_branch .LBB62_15
.LBB62_11:
                                        ; implicit-def: $vgpr5_vgpr6
	s_and_not1_b32 vcc_lo, exec_lo, s13
	s_cbranch_vccnz .LBB62_15
.LBB62_12:
	s_and_not1_b32 vcc_lo, exec_lo, s8
	s_cbranch_vccnz .LBB62_14
; %bb.13:
	s_waitcnt lgkmcnt(0)
	v_mul_lo_u32 v6, v8, s14
	v_mul_lo_u32 v8, v7, s15
	v_mad_u64_u32 v[4:5], null, v7, s14, 0
	s_delay_alu instid0(VALU_DEP_1) | instskip(NEXT) | instid1(VALU_DEP_1)
	v_add3_u32 v5, v5, v8, v6
	v_dual_mov_b32 v8, v5 :: v_dual_mov_b32 v7, v4
.LBB62_14:
	s_delay_alu instid0(VALU_DEP_1)
	v_dual_mov_b32 v5, v7 :: v_dual_mov_b32 v6, v8
.LBB62_15:
	s_cmp_eq_u32 s11, 1
	v_mov_b32_e32 v4, 0
	s_cselect_b32 s10, -1, 0
	s_cmpk_eq_i32 s9, 0x6f
	s_cselect_b32 s16, -1, 0
	s_cmpk_lg_i32 s9, 0x6f
	s_cselect_b32 s8, -1, 0
	s_cmp_lg_u32 s11, 1
	s_cbranch_scc0 .LBB62_19
; %bb.16:
	v_dual_mov_b32 v8, v4 :: v_dual_mov_b32 v7, v3
	s_and_not1_b32 vcc_lo, exec_lo, s8
	s_cbranch_vccnz .LBB62_18
; %bb.17:
	v_mad_u64_u32 v[7:8], null, v3, s4, 0
	s_delay_alu instid0(VALU_DEP_1) | instskip(NEXT) | instid1(VALU_DEP_1)
	v_mad_u64_u32 v[10:11], null, v3, s5, v[8:9]
	v_mov_b32_e32 v8, v10
.LBB62_18:
	s_cbranch_execz .LBB62_20
	s_branch .LBB62_23
.LBB62_19:
                                        ; implicit-def: $vgpr7_vgpr8
.LBB62_20:
	s_and_not1_b32 vcc_lo, exec_lo, s16
	s_cbranch_vccnz .LBB62_22
; %bb.21:
	v_mad_u64_u32 v[7:8], null, v3, s4, 0
	s_delay_alu instid0(VALU_DEP_1) | instskip(NEXT) | instid1(VALU_DEP_1)
	v_mov_b32_e32 v4, v8
	v_mad_u64_u32 v[10:11], null, v3, s5, v[4:5]
	s_delay_alu instid0(VALU_DEP_1) | instskip(NEXT) | instid1(VALU_DEP_1)
	v_mov_b32_e32 v8, v10
	v_dual_mov_b32 v3, v7 :: v_dual_mov_b32 v4, v8
.LBB62_22:
	s_delay_alu instid0(VALU_DEP_1)
	v_dual_mov_b32 v8, v4 :: v_dual_mov_b32 v7, v3
.LBB62_23:
	s_load_b64 s[8:9], s[0:1], 0x50
	v_dual_mov_b32 v11, 0 :: v_dual_and_b32 v10, 1, v0
	s_mov_b32 s13, exec_lo
	s_delay_alu instid0(VALU_DEP_1)
	v_cmpx_gt_i32_e64 s12, v10
	s_cbranch_execz .LBB62_27
; %bb.24:
	s_xor_b32 s3, s7, s3
	v_and_b32_e32 v0, 1, v0
	s_and_b32 s3, s3, exec_lo
	s_waitcnt lgkmcnt(0)
	s_cselect_b32 s15, 0, s15
	s_cselect_b32 s14, 1, s14
	s_xor_b32 s3, s16, s10
	v_mul_lo_u32 v4, s15, v0
	s_and_b32 s3, s3, exec_lo
	s_cselect_b32 s11, s5, 0
	v_mul_lo_u32 v3, s14, v0
	s_cselect_b32 s10, s4, 1
	s_load_b64 s[4:5], s[0:1], 0x28
	v_mul_lo_u32 v12, s11, v0
	v_mul_lo_u32 v11, s10, v0
	s_load_b64 s[0:1], s[0:1], 0x38
	v_lshlrev_b64 v[5:6], 1, v[5:6]
	v_lshlrev_b64 v[7:8], 1, v[7:8]
	;; [unrolled: 1-line block ×3, first 2 shown]
	s_lshl_b64 s[10:11], s[10:11], 2
	s_delay_alu instid0(VALU_DEP_4) | instskip(NEXT) | instid1(VALU_DEP_2)
	v_lshlrev_b64 v[11:12], 1, v[11:12]
	v_add_co_u32 v0, vcc_lo, v3, v5
	s_delay_alu instid0(VALU_DEP_3) | instskip(NEXT) | instid1(VALU_DEP_3)
	v_add_co_ci_u32_e32 v4, vcc_lo, v4, v6, vcc_lo
	v_add_co_u32 v5, vcc_lo, v11, v7
	v_mov_b32_e32 v11, 0
	v_add_co_ci_u32_e32 v6, vcc_lo, v12, v8, vcc_lo
	s_waitcnt lgkmcnt(0)
	v_add_co_u32 v3, vcc_lo, s4, v0
	v_add_co_ci_u32_e32 v4, vcc_lo, s5, v4, vcc_lo
	v_add_co_u32 v5, vcc_lo, s0, v5
	v_add_co_ci_u32_e32 v6, vcc_lo, s1, v6, vcc_lo
	v_mov_b32_e32 v0, v10
	s_mov_b32 s1, 0
	s_lshl_b64 s[4:5], s[14:15], 2
	.p2align	6
.LBB62_25:                              ; =>This Inner Loop Header: Depth=1
	global_load_u16 v7, v[3:4], off
	global_load_u16 v8, v[5:6], off
	v_add_co_u32 v3, vcc_lo, v3, s4
	v_add_co_ci_u32_e32 v4, vcc_lo, s5, v4, vcc_lo
	v_add_co_u32 v5, vcc_lo, v5, s10
	v_add_co_ci_u32_e32 v6, vcc_lo, s11, v6, vcc_lo
	s_waitcnt vmcnt(0)
	v_mul_f16_e32 v7, v7, v8
	s_delay_alu instid0(VALU_DEP_1) | instskip(NEXT) | instid1(VALU_DEP_1)
	v_cvt_f32_f16_e32 v7, v7
	v_dual_add_f32 v11, v11, v7 :: v_dual_add_nc_u32 v0, 2, v0
	s_delay_alu instid0(VALU_DEP_1) | instskip(NEXT) | instid1(VALU_DEP_1)
	v_cmp_le_i32_e64 s0, s12, v0
	s_or_b32 s1, s0, s1
	s_delay_alu instid0(SALU_CYCLE_1)
	s_and_not1_b32 exec_lo, exec_lo, s1
	s_cbranch_execnz .LBB62_25
; %bb.26:
	s_or_b32 exec_lo, exec_lo, s1
.LBB62_27:
	s_delay_alu instid0(SALU_CYCLE_1) | instskip(SKIP_2) | instid1(VALU_DEP_2)
	s_or_b32 exec_lo, exec_lo, s13
	v_lshlrev_b32_e32 v0, 3, v9
	v_cmp_eq_u32_e32 vcc_lo, 0, v10
	v_lshl_or_b32 v3, v10, 2, v0
	ds_store_b32 v3, v11
	s_waitcnt lgkmcnt(0)
	s_barrier
	buffer_gl0_inv
	s_and_saveexec_b32 s0, vcc_lo
	s_cbranch_execz .LBB62_29
; %bb.28:
	ds_load_b32 v4, v0 offset:4
	ds_load_b32 v5, v3
	s_waitcnt lgkmcnt(0)
	v_add_f32_e32 v4, v4, v5
	ds_store_b32 v3, v4
.LBB62_29:
	s_or_b32 exec_lo, exec_lo, s0
	s_waitcnt lgkmcnt(0)
	s_barrier
	buffer_gl0_inv
	s_and_b32 exec_lo, exec_lo, vcc_lo
	s_cbranch_execz .LBB62_31
; %bb.30:
	v_add_co_u32 v1, vcc_lo, s8, v1
	v_add_co_ci_u32_e32 v2, vcc_lo, s9, v2, vcc_lo
	ds_load_b32 v0, v0
	global_load_b32 v3, v[1:2], off
	s_waitcnt lgkmcnt(0)
	v_mul_f32_e32 v0, s2, v0
	s_waitcnt vmcnt(0)
	s_delay_alu instid0(VALU_DEP_1)
	v_fmac_f32_e32 v0, s6, v3
	global_store_b32 v[1:2], v0, off
.LBB62_31:
	s_nop 0
	s_sendmsg sendmsg(MSG_DEALLOC_VGPRS)
	s_endpgm
	.section	.rodata,"a",@progbits
	.p2align	6, 0x0
	.amdhsa_kernel _ZN9rocsparseL16sddmm_ell_kernelILi512ELi2EfiiDF16_DF16_fEEv20rocsparse_operation_S1_16rocsparse_order_S2_T3_S3_S3_T2_NS_24const_host_device_scalarIT1_EEPKT4_lPKT5_lS7_PT6_PKS3_21rocsparse_index_base_b
		.amdhsa_group_segment_fixed_size 2048
		.amdhsa_private_segment_fixed_size 0
		.amdhsa_kernarg_size 104
		.amdhsa_user_sgpr_count 15
		.amdhsa_user_sgpr_dispatch_ptr 0
		.amdhsa_user_sgpr_queue_ptr 0
		.amdhsa_user_sgpr_kernarg_segment_ptr 1
		.amdhsa_user_sgpr_dispatch_id 0
		.amdhsa_user_sgpr_private_segment_size 0
		.amdhsa_wavefront_size32 1
		.amdhsa_uses_dynamic_stack 0
		.amdhsa_enable_private_segment 0
		.amdhsa_system_sgpr_workgroup_id_x 1
		.amdhsa_system_sgpr_workgroup_id_y 0
		.amdhsa_system_sgpr_workgroup_id_z 0
		.amdhsa_system_sgpr_workgroup_info 0
		.amdhsa_system_vgpr_workitem_id 0
		.amdhsa_next_free_vgpr 13
		.amdhsa_next_free_sgpr 17
		.amdhsa_reserve_vcc 1
		.amdhsa_float_round_mode_32 0
		.amdhsa_float_round_mode_16_64 0
		.amdhsa_float_denorm_mode_32 3
		.amdhsa_float_denorm_mode_16_64 3
		.amdhsa_dx10_clamp 1
		.amdhsa_ieee_mode 1
		.amdhsa_fp16_overflow 0
		.amdhsa_workgroup_processor_mode 1
		.amdhsa_memory_ordered 1
		.amdhsa_forward_progress 0
		.amdhsa_shared_vgpr_count 0
		.amdhsa_exception_fp_ieee_invalid_op 0
		.amdhsa_exception_fp_denorm_src 0
		.amdhsa_exception_fp_ieee_div_zero 0
		.amdhsa_exception_fp_ieee_overflow 0
		.amdhsa_exception_fp_ieee_underflow 0
		.amdhsa_exception_fp_ieee_inexact 0
		.amdhsa_exception_int_div_zero 0
	.end_amdhsa_kernel
	.section	.text._ZN9rocsparseL16sddmm_ell_kernelILi512ELi2EfiiDF16_DF16_fEEv20rocsparse_operation_S1_16rocsparse_order_S2_T3_S3_S3_T2_NS_24const_host_device_scalarIT1_EEPKT4_lPKT5_lS7_PT6_PKS3_21rocsparse_index_base_b,"axG",@progbits,_ZN9rocsparseL16sddmm_ell_kernelILi512ELi2EfiiDF16_DF16_fEEv20rocsparse_operation_S1_16rocsparse_order_S2_T3_S3_S3_T2_NS_24const_host_device_scalarIT1_EEPKT4_lPKT5_lS7_PT6_PKS3_21rocsparse_index_base_b,comdat
.Lfunc_end62:
	.size	_ZN9rocsparseL16sddmm_ell_kernelILi512ELi2EfiiDF16_DF16_fEEv20rocsparse_operation_S1_16rocsparse_order_S2_T3_S3_S3_T2_NS_24const_host_device_scalarIT1_EEPKT4_lPKT5_lS7_PT6_PKS3_21rocsparse_index_base_b, .Lfunc_end62-_ZN9rocsparseL16sddmm_ell_kernelILi512ELi2EfiiDF16_DF16_fEEv20rocsparse_operation_S1_16rocsparse_order_S2_T3_S3_S3_T2_NS_24const_host_device_scalarIT1_EEPKT4_lPKT5_lS7_PT6_PKS3_21rocsparse_index_base_b
                                        ; -- End function
	.section	.AMDGPU.csdata,"",@progbits
; Kernel info:
; codeLenInByte = 1256
; NumSgprs: 19
; NumVgprs: 13
; ScratchSize: 0
; MemoryBound: 0
; FloatMode: 240
; IeeeMode: 1
; LDSByteSize: 2048 bytes/workgroup (compile time only)
; SGPRBlocks: 2
; VGPRBlocks: 1
; NumSGPRsForWavesPerEU: 19
; NumVGPRsForWavesPerEU: 13
; Occupancy: 16
; WaveLimiterHint : 0
; COMPUTE_PGM_RSRC2:SCRATCH_EN: 0
; COMPUTE_PGM_RSRC2:USER_SGPR: 15
; COMPUTE_PGM_RSRC2:TRAP_HANDLER: 0
; COMPUTE_PGM_RSRC2:TGID_X_EN: 1
; COMPUTE_PGM_RSRC2:TGID_Y_EN: 0
; COMPUTE_PGM_RSRC2:TGID_Z_EN: 0
; COMPUTE_PGM_RSRC2:TIDIG_COMP_CNT: 0
	.section	.text._ZN9rocsparseL16sddmm_ell_kernelILi512ELi1EfiiDF16_DF16_fEEv20rocsparse_operation_S1_16rocsparse_order_S2_T3_S3_S3_T2_NS_24const_host_device_scalarIT1_EEPKT4_lPKT5_lS7_PT6_PKS3_21rocsparse_index_base_b,"axG",@progbits,_ZN9rocsparseL16sddmm_ell_kernelILi512ELi1EfiiDF16_DF16_fEEv20rocsparse_operation_S1_16rocsparse_order_S2_T3_S3_S3_T2_NS_24const_host_device_scalarIT1_EEPKT4_lPKT5_lS7_PT6_PKS3_21rocsparse_index_base_b,comdat
	.globl	_ZN9rocsparseL16sddmm_ell_kernelILi512ELi1EfiiDF16_DF16_fEEv20rocsparse_operation_S1_16rocsparse_order_S2_T3_S3_S3_T2_NS_24const_host_device_scalarIT1_EEPKT4_lPKT5_lS7_PT6_PKS3_21rocsparse_index_base_b ; -- Begin function _ZN9rocsparseL16sddmm_ell_kernelILi512ELi1EfiiDF16_DF16_fEEv20rocsparse_operation_S1_16rocsparse_order_S2_T3_S3_S3_T2_NS_24const_host_device_scalarIT1_EEPKT4_lPKT5_lS7_PT6_PKS3_21rocsparse_index_base_b
	.p2align	8
	.type	_ZN9rocsparseL16sddmm_ell_kernelILi512ELi1EfiiDF16_DF16_fEEv20rocsparse_operation_S1_16rocsparse_order_S2_T3_S3_S3_T2_NS_24const_host_device_scalarIT1_EEPKT4_lPKT5_lS7_PT6_PKS3_21rocsparse_index_base_b,@function
_ZN9rocsparseL16sddmm_ell_kernelILi512ELi1EfiiDF16_DF16_fEEv20rocsparse_operation_S1_16rocsparse_order_S2_T3_S3_S3_T2_NS_24const_host_device_scalarIT1_EEPKT4_lPKT5_lS7_PT6_PKS3_21rocsparse_index_base_b: ; @_ZN9rocsparseL16sddmm_ell_kernelILi512ELi1EfiiDF16_DF16_fEEv20rocsparse_operation_S1_16rocsparse_order_S2_T3_S3_S3_T2_NS_24const_host_device_scalarIT1_EEPKT4_lPKT5_lS7_PT6_PKS3_21rocsparse_index_base_b
; %bb.0:
	s_clause 0x2
	s_load_b64 s[8:9], s[0:1], 0x60
	s_load_b64 s[2:3], s[0:1], 0x20
	s_load_b128 s[4:7], s[0:1], 0x40
	s_waitcnt lgkmcnt(0)
	s_bitcmp1_b32 s9, 0
	s_cselect_b32 s9, -1, 0
	s_delay_alu instid0(SALU_CYCLE_1)
	s_and_b32 vcc_lo, exec_lo, s9
	s_xor_b32 s9, s9, -1
	s_cbranch_vccnz .LBB63_2
; %bb.1:
	s_load_b32 s2, s[2:3], 0x0
.LBB63_2:
	s_and_not1_b32 vcc_lo, exec_lo, s9
	s_cbranch_vccnz .LBB63_4
; %bb.3:
	s_load_b32 s6, s[6:7], 0x0
.LBB63_4:
	s_waitcnt lgkmcnt(0)
	v_cmp_eq_f32_e64 s3, s2, 0
	v_cmp_eq_f32_e64 s7, s6, 1.0
	s_delay_alu instid0(VALU_DEP_1) | instskip(NEXT) | instid1(SALU_CYCLE_1)
	s_and_b32 s3, s3, s7
	s_and_b32 vcc_lo, exec_lo, s3
	s_cbranch_vccnz .LBB63_28
; %bb.5:
	s_load_b64 s[12:13], s[0:1], 0x18
	v_lshl_or_b32 v4, s15, 9, v0
	s_mov_b32 s3, exec_lo
	s_waitcnt lgkmcnt(0)
	s_delay_alu instid0(VALU_DEP_1)
	v_cmpx_gt_i32_e64 s13, v4
	s_cbranch_execz .LBB63_28
; %bb.6:
	s_load_b64 s[10:11], s[0:1], 0x58
	v_ashrrev_i32_e32 v5, 31, v4
	s_mov_b32 s13, -1
	s_delay_alu instid0(VALU_DEP_1) | instskip(SKIP_1) | instid1(VALU_DEP_1)
	v_lshlrev_b64 v[1:2], 2, v[4:5]
	s_waitcnt lgkmcnt(0)
	v_add_co_u32 v6, vcc_lo, s10, v1
	s_delay_alu instid0(VALU_DEP_2) | instskip(SKIP_3) | instid1(VALU_DEP_1)
	v_add_co_ci_u32_e32 v7, vcc_lo, s11, v2, vcc_lo
	global_load_b32 v3, v[6:7], off
	s_waitcnt vmcnt(0)
	v_subrev_nc_u32_e32 v3, s8, v3
	v_cmp_lt_i32_e32 vcc_lo, -1, v3
	s_and_b32 exec_lo, exec_lo, vcc_lo
	s_cbranch_execz .LBB63_28
; %bb.7:
	s_clause 0x1
	s_load_b128 s[8:11], s[0:1], 0x0
	s_load_b32 s14, s[0:1], 0x10
	v_sub_nc_u32_e32 v8, 0, v4
	s_delay_alu instid0(VALU_DEP_1)
	v_max_i32_e32 v4, v4, v8
	s_waitcnt lgkmcnt(0)
	s_cmp_eq_u32 s10, 1
	s_cselect_b32 s3, -1, 0
	s_cmpk_eq_i32 s8, 0x6f
	s_cselect_b32 s7, -1, 0
	s_cmpk_lg_i32 s8, 0x6f
	s_cselect_b32 s8, -1, 0
	s_abs_i32 s16, s14
	s_delay_alu instid0(SALU_CYCLE_1) | instskip(SKIP_2) | instid1(VALU_DEP_1)
	v_cvt_f32_u32_e32 v6, s16
	s_sub_i32 s14, 0, s16
	s_cmp_lg_u32 s10, 1
	v_rcp_iflag_f32_e32 v6, v6
	s_waitcnt_depctr 0xfff
	v_mul_f32_e32 v6, 0x4f7ffffe, v6
	s_delay_alu instid0(VALU_DEP_1) | instskip(NEXT) | instid1(VALU_DEP_1)
	v_cvt_u32_f32_e32 v6, v6
	v_mul_lo_u32 v7, s14, v6
	s_load_b64 s[14:15], s[0:1], 0x30
	s_delay_alu instid0(VALU_DEP_1) | instskip(NEXT) | instid1(VALU_DEP_1)
	v_mul_hi_u32 v7, v6, v7
	v_add_nc_u32_e32 v6, v6, v7
	s_delay_alu instid0(VALU_DEP_1) | instskip(NEXT) | instid1(VALU_DEP_1)
	v_mul_hi_u32 v6, v4, v6
	v_mul_lo_u32 v6, v6, s16
	s_delay_alu instid0(VALU_DEP_1) | instskip(NEXT) | instid1(VALU_DEP_1)
	v_sub_nc_u32_e32 v4, v4, v6
	v_subrev_nc_u32_e32 v6, s16, v4
	v_cmp_le_u32_e32 vcc_lo, s16, v4
	s_delay_alu instid0(VALU_DEP_2) | instskip(NEXT) | instid1(VALU_DEP_1)
	v_cndmask_b32_e32 v4, v4, v6, vcc_lo
	v_subrev_nc_u32_e32 v6, s16, v4
	v_cmp_le_u32_e32 vcc_lo, s16, v4
	s_delay_alu instid0(VALU_DEP_2) | instskip(NEXT) | instid1(VALU_DEP_1)
	v_cndmask_b32_e32 v4, v4, v6, vcc_lo
	v_xor_b32_e32 v4, v4, v5
	s_delay_alu instid0(VALU_DEP_1) | instskip(NEXT) | instid1(VALU_DEP_1)
	v_sub_nc_u32_e32 v7, v4, v5
	v_ashrrev_i32_e32 v8, 31, v7
	s_cbranch_scc0 .LBB63_11
; %bb.8:
	s_delay_alu instid0(VALU_DEP_1)
	v_dual_mov_b32 v5, v7 :: v_dual_mov_b32 v6, v8
	s_and_not1_b32 vcc_lo, exec_lo, s7
	s_cbranch_vccnz .LBB63_10
; %bb.9:
	s_waitcnt lgkmcnt(0)
	v_mul_lo_u32 v4, v8, s14
	v_mul_lo_u32 v9, v7, s15
	v_mad_u64_u32 v[5:6], null, v7, s14, 0
	s_delay_alu instid0(VALU_DEP_1)
	v_add3_u32 v6, v6, v9, v4
.LBB63_10:
	s_cbranch_execz .LBB63_12
	s_branch .LBB63_15
.LBB63_11:
                                        ; implicit-def: $vgpr5_vgpr6
	s_and_not1_b32 vcc_lo, exec_lo, s13
	s_cbranch_vccnz .LBB63_15
.LBB63_12:
	s_and_not1_b32 vcc_lo, exec_lo, s8
	s_cbranch_vccnz .LBB63_14
; %bb.13:
	s_waitcnt lgkmcnt(0)
	v_mul_lo_u32 v6, v8, s14
	v_mul_lo_u32 v8, v7, s15
	v_mad_u64_u32 v[4:5], null, v7, s14, 0
	s_delay_alu instid0(VALU_DEP_1) | instskip(NEXT) | instid1(VALU_DEP_1)
	v_add3_u32 v5, v5, v8, v6
	v_dual_mov_b32 v8, v5 :: v_dual_mov_b32 v7, v4
.LBB63_14:
	s_delay_alu instid0(VALU_DEP_1)
	v_dual_mov_b32 v5, v7 :: v_dual_mov_b32 v6, v8
.LBB63_15:
	s_cmp_eq_u32 s11, 1
	v_mov_b32_e32 v4, 0
	s_cselect_b32 s10, -1, 0
	s_cmpk_eq_i32 s9, 0x6f
	s_cselect_b32 s13, -1, 0
	s_cmpk_lg_i32 s9, 0x6f
	s_cselect_b32 s8, -1, 0
	s_cmp_lg_u32 s11, 1
	s_cbranch_scc0 .LBB63_19
; %bb.16:
	v_dual_mov_b32 v8, v4 :: v_dual_mov_b32 v7, v3
	s_and_not1_b32 vcc_lo, exec_lo, s8
	s_cbranch_vccnz .LBB63_18
; %bb.17:
	v_mad_u64_u32 v[7:8], null, v3, s4, 0
	s_delay_alu instid0(VALU_DEP_1) | instskip(NEXT) | instid1(VALU_DEP_1)
	v_mad_u64_u32 v[9:10], null, v3, s5, v[8:9]
	v_mov_b32_e32 v8, v9
.LBB63_18:
	s_cbranch_execz .LBB63_20
	s_branch .LBB63_23
.LBB63_19:
                                        ; implicit-def: $vgpr7_vgpr8
.LBB63_20:
	s_and_not1_b32 vcc_lo, exec_lo, s13
	s_cbranch_vccnz .LBB63_22
; %bb.21:
	v_mad_u64_u32 v[7:8], null, v3, s4, 0
	s_delay_alu instid0(VALU_DEP_1) | instskip(NEXT) | instid1(VALU_DEP_1)
	v_mov_b32_e32 v4, v8
	v_mad_u64_u32 v[8:9], null, v3, s5, v[4:5]
	s_delay_alu instid0(VALU_DEP_1)
	v_dual_mov_b32 v3, v7 :: v_dual_mov_b32 v4, v8
.LBB63_22:
	s_delay_alu instid0(VALU_DEP_1)
	v_dual_mov_b32 v8, v4 :: v_dual_mov_b32 v7, v3
.LBB63_23:
	s_load_b64 s[8:9], s[0:1], 0x50
	s_cmp_lt_i32 s12, 1
	s_cbranch_scc1 .LBB63_26
; %bb.24:
	s_clause 0x1
	s_load_b64 s[16:17], s[0:1], 0x38
	s_load_b64 s[0:1], s[0:1], 0x28
	v_lshlrev_b64 v[3:4], 1, v[7:8]
	v_lshlrev_b64 v[5:6], 1, v[5:6]
	s_xor_b32 s3, s7, s3
	v_mov_b32_e32 v7, 0
	s_and_b32 s3, s3, exec_lo
	s_waitcnt lgkmcnt(0)
	s_cselect_b32 s15, 0, s15
	s_cselect_b32 s14, 1, s14
	s_xor_b32 s3, s13, s10
	s_delay_alu instid0(SALU_CYCLE_1) | instskip(SKIP_2) | instid1(SALU_CYCLE_1)
	s_and_b32 s3, s3, exec_lo
	s_cselect_b32 s5, s5, 0
	s_cselect_b32 s4, s4, 1
	s_lshl_b64 s[4:5], s[4:5], 1
	v_add_co_u32 v3, vcc_lo, s16, v3
	v_add_co_ci_u32_e32 v4, vcc_lo, s17, v4, vcc_lo
	v_add_co_u32 v5, vcc_lo, s0, v5
	v_add_co_ci_u32_e32 v6, vcc_lo, s1, v6, vcc_lo
	s_lshl_b64 s[0:1], s[14:15], 1
	.p2align	6
.LBB63_25:                              ; =>This Inner Loop Header: Depth=1
	global_load_u16 v8, v[5:6], off
	global_load_u16 v9, v[3:4], off
	v_add_co_u32 v5, vcc_lo, v5, s0
	v_add_co_ci_u32_e32 v6, vcc_lo, s1, v6, vcc_lo
	v_add_co_u32 v3, vcc_lo, v3, s4
	v_add_co_ci_u32_e32 v4, vcc_lo, s5, v4, vcc_lo
	s_add_i32 s12, s12, -1
	s_delay_alu instid0(SALU_CYCLE_1) | instskip(SKIP_2) | instid1(VALU_DEP_1)
	s_cmp_eq_u32 s12, 0
	s_waitcnt vmcnt(0)
	v_mul_f16_e32 v8, v8, v9
	v_cvt_f32_f16_e32 v8, v8
	s_delay_alu instid0(VALU_DEP_1)
	v_add_f32_e32 v7, v7, v8
	s_cbranch_scc0 .LBB63_25
	s_branch .LBB63_27
.LBB63_26:
	v_mov_b32_e32 v7, 0
.LBB63_27:
	v_lshlrev_b32_e32 v3, 2, v0
	s_waitcnt lgkmcnt(0)
	v_add_co_u32 v0, vcc_lo, s8, v1
	v_add_co_ci_u32_e32 v1, vcc_lo, s9, v2, vcc_lo
	ds_store_b32 v3, v7
	s_waitcnt lgkmcnt(0)
	s_barrier
	buffer_gl0_inv
	global_load_b32 v2, v[0:1], off
	ds_load_b32 v3, v3
	s_waitcnt lgkmcnt(0)
	v_mul_f32_e32 v3, s2, v3
	s_waitcnt vmcnt(0)
	s_delay_alu instid0(VALU_DEP_1)
	v_fmac_f32_e32 v3, s6, v2
	global_store_b32 v[0:1], v3, off
.LBB63_28:
	s_nop 0
	s_sendmsg sendmsg(MSG_DEALLOC_VGPRS)
	s_endpgm
	.section	.rodata,"a",@progbits
	.p2align	6, 0x0
	.amdhsa_kernel _ZN9rocsparseL16sddmm_ell_kernelILi512ELi1EfiiDF16_DF16_fEEv20rocsparse_operation_S1_16rocsparse_order_S2_T3_S3_S3_T2_NS_24const_host_device_scalarIT1_EEPKT4_lPKT5_lS7_PT6_PKS3_21rocsparse_index_base_b
		.amdhsa_group_segment_fixed_size 2048
		.amdhsa_private_segment_fixed_size 0
		.amdhsa_kernarg_size 104
		.amdhsa_user_sgpr_count 15
		.amdhsa_user_sgpr_dispatch_ptr 0
		.amdhsa_user_sgpr_queue_ptr 0
		.amdhsa_user_sgpr_kernarg_segment_ptr 1
		.amdhsa_user_sgpr_dispatch_id 0
		.amdhsa_user_sgpr_private_segment_size 0
		.amdhsa_wavefront_size32 1
		.amdhsa_uses_dynamic_stack 0
		.amdhsa_enable_private_segment 0
		.amdhsa_system_sgpr_workgroup_id_x 1
		.amdhsa_system_sgpr_workgroup_id_y 0
		.amdhsa_system_sgpr_workgroup_id_z 0
		.amdhsa_system_sgpr_workgroup_info 0
		.amdhsa_system_vgpr_workitem_id 0
		.amdhsa_next_free_vgpr 11
		.amdhsa_next_free_sgpr 18
		.amdhsa_reserve_vcc 1
		.amdhsa_float_round_mode_32 0
		.amdhsa_float_round_mode_16_64 0
		.amdhsa_float_denorm_mode_32 3
		.amdhsa_float_denorm_mode_16_64 3
		.amdhsa_dx10_clamp 1
		.amdhsa_ieee_mode 1
		.amdhsa_fp16_overflow 0
		.amdhsa_workgroup_processor_mode 1
		.amdhsa_memory_ordered 1
		.amdhsa_forward_progress 0
		.amdhsa_shared_vgpr_count 0
		.amdhsa_exception_fp_ieee_invalid_op 0
		.amdhsa_exception_fp_denorm_src 0
		.amdhsa_exception_fp_ieee_div_zero 0
		.amdhsa_exception_fp_ieee_overflow 0
		.amdhsa_exception_fp_ieee_underflow 0
		.amdhsa_exception_fp_ieee_inexact 0
		.amdhsa_exception_int_div_zero 0
	.end_amdhsa_kernel
	.section	.text._ZN9rocsparseL16sddmm_ell_kernelILi512ELi1EfiiDF16_DF16_fEEv20rocsparse_operation_S1_16rocsparse_order_S2_T3_S3_S3_T2_NS_24const_host_device_scalarIT1_EEPKT4_lPKT5_lS7_PT6_PKS3_21rocsparse_index_base_b,"axG",@progbits,_ZN9rocsparseL16sddmm_ell_kernelILi512ELi1EfiiDF16_DF16_fEEv20rocsparse_operation_S1_16rocsparse_order_S2_T3_S3_S3_T2_NS_24const_host_device_scalarIT1_EEPKT4_lPKT5_lS7_PT6_PKS3_21rocsparse_index_base_b,comdat
.Lfunc_end63:
	.size	_ZN9rocsparseL16sddmm_ell_kernelILi512ELi1EfiiDF16_DF16_fEEv20rocsparse_operation_S1_16rocsparse_order_S2_T3_S3_S3_T2_NS_24const_host_device_scalarIT1_EEPKT4_lPKT5_lS7_PT6_PKS3_21rocsparse_index_base_b, .Lfunc_end63-_ZN9rocsparseL16sddmm_ell_kernelILi512ELi1EfiiDF16_DF16_fEEv20rocsparse_operation_S1_16rocsparse_order_S2_T3_S3_S3_T2_NS_24const_host_device_scalarIT1_EEPKT4_lPKT5_lS7_PT6_PKS3_21rocsparse_index_base_b
                                        ; -- End function
	.section	.AMDGPU.csdata,"",@progbits
; Kernel info:
; codeLenInByte = 1044
; NumSgprs: 20
; NumVgprs: 11
; ScratchSize: 0
; MemoryBound: 0
; FloatMode: 240
; IeeeMode: 1
; LDSByteSize: 2048 bytes/workgroup (compile time only)
; SGPRBlocks: 2
; VGPRBlocks: 1
; NumSGPRsForWavesPerEU: 20
; NumVGPRsForWavesPerEU: 11
; Occupancy: 16
; WaveLimiterHint : 0
; COMPUTE_PGM_RSRC2:SCRATCH_EN: 0
; COMPUTE_PGM_RSRC2:USER_SGPR: 15
; COMPUTE_PGM_RSRC2:TRAP_HANDLER: 0
; COMPUTE_PGM_RSRC2:TGID_X_EN: 1
; COMPUTE_PGM_RSRC2:TGID_Y_EN: 0
; COMPUTE_PGM_RSRC2:TGID_Z_EN: 0
; COMPUTE_PGM_RSRC2:TIDIG_COMP_CNT: 0
	.section	.text._ZN9rocsparseL16sddmm_ell_kernelILi512ELi8EfllDF16_DF16_fEEv20rocsparse_operation_S1_16rocsparse_order_S2_T3_S3_S3_T2_NS_24const_host_device_scalarIT1_EEPKT4_lPKT5_lS7_PT6_PKS3_21rocsparse_index_base_b,"axG",@progbits,_ZN9rocsparseL16sddmm_ell_kernelILi512ELi8EfllDF16_DF16_fEEv20rocsparse_operation_S1_16rocsparse_order_S2_T3_S3_S3_T2_NS_24const_host_device_scalarIT1_EEPKT4_lPKT5_lS7_PT6_PKS3_21rocsparse_index_base_b,comdat
	.globl	_ZN9rocsparseL16sddmm_ell_kernelILi512ELi8EfllDF16_DF16_fEEv20rocsparse_operation_S1_16rocsparse_order_S2_T3_S3_S3_T2_NS_24const_host_device_scalarIT1_EEPKT4_lPKT5_lS7_PT6_PKS3_21rocsparse_index_base_b ; -- Begin function _ZN9rocsparseL16sddmm_ell_kernelILi512ELi8EfllDF16_DF16_fEEv20rocsparse_operation_S1_16rocsparse_order_S2_T3_S3_S3_T2_NS_24const_host_device_scalarIT1_EEPKT4_lPKT5_lS7_PT6_PKS3_21rocsparse_index_base_b
	.p2align	8
	.type	_ZN9rocsparseL16sddmm_ell_kernelILi512ELi8EfllDF16_DF16_fEEv20rocsparse_operation_S1_16rocsparse_order_S2_T3_S3_S3_T2_NS_24const_host_device_scalarIT1_EEPKT4_lPKT5_lS7_PT6_PKS3_21rocsparse_index_base_b,@function
_ZN9rocsparseL16sddmm_ell_kernelILi512ELi8EfllDF16_DF16_fEEv20rocsparse_operation_S1_16rocsparse_order_S2_T3_S3_S3_T2_NS_24const_host_device_scalarIT1_EEPKT4_lPKT5_lS7_PT6_PKS3_21rocsparse_index_base_b: ; @_ZN9rocsparseL16sddmm_ell_kernelILi512ELi8EfllDF16_DF16_fEEv20rocsparse_operation_S1_16rocsparse_order_S2_T3_S3_S3_T2_NS_24const_host_device_scalarIT1_EEPKT4_lPKT5_lS7_PT6_PKS3_21rocsparse_index_base_b
; %bb.0:
	s_clause 0x2
	s_load_b64 s[12:13], s[0:1], 0x70
	s_load_b64 s[16:17], s[0:1], 0x30
	s_load_b128 s[4:7], s[0:1], 0x50
	s_waitcnt lgkmcnt(0)
	s_bitcmp1_b32 s13, 0
	s_cselect_b32 s2, -1, 0
	s_delay_alu instid0(SALU_CYCLE_1)
	s_and_b32 vcc_lo, exec_lo, s2
	s_xor_b32 s2, s2, -1
	s_cbranch_vccnz .LBB64_2
; %bb.1:
	s_load_b32 s16, s[16:17], 0x0
.LBB64_2:
	s_and_not1_b32 vcc_lo, exec_lo, s2
	s_cbranch_vccnz .LBB64_4
; %bb.3:
	s_load_b32 s6, s[6:7], 0x0
.LBB64_4:
	s_waitcnt lgkmcnt(0)
	v_cmp_eq_f32_e64 s2, s16, 0
	v_cmp_eq_f32_e64 s3, s6, 1.0
	s_delay_alu instid0(VALU_DEP_1) | instskip(NEXT) | instid1(SALU_CYCLE_1)
	s_and_b32 s2, s2, s3
	s_and_b32 vcc_lo, exec_lo, s2
	s_cbranch_vccnz .LBB64_39
; %bb.5:
	s_load_b128 s[8:11], s[0:1], 0x20
	v_lshrrev_b32_e32 v11, 3, v0
	v_mov_b32_e32 v2, 0
	s_mov_b32 s2, exec_lo
	s_delay_alu instid0(VALU_DEP_2) | instskip(SKIP_1) | instid1(VALU_DEP_1)
	v_lshl_or_b32 v1, s15, 6, v11
	s_waitcnt lgkmcnt(0)
	v_cmpx_gt_i64_e64 s[10:11], v[1:2]
	s_cbranch_execz .LBB64_39
; %bb.6:
	s_clause 0x1
	s_load_b64 s[14:15], s[0:1], 0x10
	s_load_b64 s[10:11], s[0:1], 0x68
	s_mov_b32 s2, 0
                                        ; implicit-def: $vgpr7_vgpr8
	s_waitcnt lgkmcnt(0)
	s_mov_b32 s3, s15
	s_delay_alu instid0(SALU_CYCLE_1) | instskip(SKIP_1) | instid1(SALU_CYCLE_1)
	s_cmp_lg_u64 s[2:3], 0
	s_cselect_b32 s2, -1, 0
	s_and_saveexec_b32 s3, s2
	s_delay_alu instid0(SALU_CYCLE_1)
	s_xor_b32 s3, exec_lo, s3
	s_cbranch_execz .LBB64_8
; %bb.7:
	s_ashr_i32 s18, s15, 31
	s_delay_alu instid0(SALU_CYCLE_1) | instskip(SKIP_2) | instid1(SALU_CYCLE_1)
	s_add_u32 s20, s14, s18
	s_mov_b32 s19, s18
	s_addc_u32 s21, s15, s18
	s_xor_b64 s[18:19], s[20:21], s[18:19]
	s_delay_alu instid0(SALU_CYCLE_1) | instskip(SKIP_3) | instid1(VALU_DEP_1)
	v_cvt_f32_u32_e32 v3, s18
	v_cvt_f32_u32_e32 v4, s19
	s_sub_u32 s2, 0, s18
	s_subb_u32 s7, 0, s19
	v_fmamk_f32 v3, v4, 0x4f800000, v3
	s_delay_alu instid0(VALU_DEP_1) | instskip(SKIP_2) | instid1(VALU_DEP_1)
	v_rcp_f32_e32 v3, v3
	s_waitcnt_depctr 0xfff
	v_mul_f32_e32 v3, 0x5f7ffffc, v3
	v_mul_f32_e32 v4, 0x2f800000, v3
	s_delay_alu instid0(VALU_DEP_1) | instskip(NEXT) | instid1(VALU_DEP_1)
	v_trunc_f32_e32 v4, v4
	v_fmamk_f32 v3, v4, 0xcf800000, v3
	v_cvt_u32_f32_e32 v4, v4
	s_delay_alu instid0(VALU_DEP_2) | instskip(NEXT) | instid1(VALU_DEP_2)
	v_cvt_u32_f32_e32 v3, v3
	v_mul_lo_u32 v5, s2, v4
	s_delay_alu instid0(VALU_DEP_2) | instskip(SKIP_1) | instid1(VALU_DEP_2)
	v_mul_hi_u32 v6, s2, v3
	v_mul_lo_u32 v7, s7, v3
	v_add_nc_u32_e32 v5, v6, v5
	v_mul_lo_u32 v6, s2, v3
	s_delay_alu instid0(VALU_DEP_2) | instskip(NEXT) | instid1(VALU_DEP_2)
	v_add_nc_u32_e32 v5, v5, v7
	v_mul_hi_u32 v7, v3, v6
	s_delay_alu instid0(VALU_DEP_2)
	v_mul_lo_u32 v8, v3, v5
	v_mul_hi_u32 v9, v3, v5
	v_mul_hi_u32 v10, v4, v6
	v_mul_lo_u32 v6, v4, v6
	v_mul_hi_u32 v12, v4, v5
	v_mul_lo_u32 v5, v4, v5
	v_add_co_u32 v7, vcc_lo, v7, v8
	v_add_co_ci_u32_e32 v8, vcc_lo, 0, v9, vcc_lo
	s_delay_alu instid0(VALU_DEP_2) | instskip(NEXT) | instid1(VALU_DEP_2)
	v_add_co_u32 v6, vcc_lo, v7, v6
	v_add_co_ci_u32_e32 v6, vcc_lo, v8, v10, vcc_lo
	v_add_co_ci_u32_e32 v7, vcc_lo, 0, v12, vcc_lo
	s_delay_alu instid0(VALU_DEP_2) | instskip(NEXT) | instid1(VALU_DEP_2)
	v_add_co_u32 v5, vcc_lo, v6, v5
	v_add_co_ci_u32_e32 v6, vcc_lo, 0, v7, vcc_lo
	s_delay_alu instid0(VALU_DEP_2) | instskip(NEXT) | instid1(VALU_DEP_2)
	v_add_co_u32 v3, vcc_lo, v3, v5
	v_add_co_ci_u32_e32 v4, vcc_lo, v4, v6, vcc_lo
	s_delay_alu instid0(VALU_DEP_2) | instskip(SKIP_1) | instid1(VALU_DEP_3)
	v_mul_hi_u32 v5, s2, v3
	v_mul_lo_u32 v7, s7, v3
	v_mul_lo_u32 v6, s2, v4
	s_delay_alu instid0(VALU_DEP_1) | instskip(SKIP_1) | instid1(VALU_DEP_2)
	v_add_nc_u32_e32 v5, v5, v6
	v_mul_lo_u32 v6, s2, v3
	v_add_nc_u32_e32 v5, v5, v7
	s_delay_alu instid0(VALU_DEP_2) | instskip(NEXT) | instid1(VALU_DEP_2)
	v_mul_hi_u32 v7, v3, v6
	v_mul_lo_u32 v8, v3, v5
	v_mul_hi_u32 v9, v3, v5
	v_mul_hi_u32 v10, v4, v6
	v_mul_lo_u32 v6, v4, v6
	v_mul_hi_u32 v12, v4, v5
	v_mul_lo_u32 v5, v4, v5
	v_add_co_u32 v7, vcc_lo, v7, v8
	v_add_co_ci_u32_e32 v8, vcc_lo, 0, v9, vcc_lo
	s_delay_alu instid0(VALU_DEP_2) | instskip(NEXT) | instid1(VALU_DEP_2)
	v_add_co_u32 v6, vcc_lo, v7, v6
	v_add_co_ci_u32_e32 v6, vcc_lo, v8, v10, vcc_lo
	v_add_co_ci_u32_e32 v7, vcc_lo, 0, v12, vcc_lo
	s_delay_alu instid0(VALU_DEP_2) | instskip(NEXT) | instid1(VALU_DEP_2)
	v_add_co_u32 v5, vcc_lo, v6, v5
	v_add_co_ci_u32_e32 v6, vcc_lo, 0, v7, vcc_lo
	s_delay_alu instid0(VALU_DEP_2) | instskip(NEXT) | instid1(VALU_DEP_2)
	v_add_co_u32 v7, vcc_lo, v3, v5
	v_add_co_ci_u32_e32 v9, vcc_lo, v4, v6, vcc_lo
	s_delay_alu instid0(VALU_DEP_2) | instskip(SKIP_1) | instid1(VALU_DEP_3)
	v_mul_hi_u32 v10, v1, v7
	v_mad_u64_u32 v[5:6], null, 0, v7, 0
	v_mad_u64_u32 v[3:4], null, v1, v9, 0
	;; [unrolled: 1-line block ×3, first 2 shown]
	s_delay_alu instid0(VALU_DEP_2) | instskip(NEXT) | instid1(VALU_DEP_3)
	v_add_co_u32 v3, vcc_lo, v10, v3
	v_add_co_ci_u32_e32 v4, vcc_lo, 0, v4, vcc_lo
	s_delay_alu instid0(VALU_DEP_2) | instskip(NEXT) | instid1(VALU_DEP_2)
	v_add_co_u32 v3, vcc_lo, v3, v5
	v_add_co_ci_u32_e32 v3, vcc_lo, v4, v6, vcc_lo
	v_add_co_ci_u32_e32 v4, vcc_lo, 0, v8, vcc_lo
	s_delay_alu instid0(VALU_DEP_2) | instskip(NEXT) | instid1(VALU_DEP_2)
	v_add_co_u32 v5, vcc_lo, v3, v7
	v_add_co_ci_u32_e32 v6, vcc_lo, 0, v4, vcc_lo
	s_delay_alu instid0(VALU_DEP_2) | instskip(SKIP_1) | instid1(VALU_DEP_3)
	v_mul_lo_u32 v7, s19, v5
	v_mad_u64_u32 v[3:4], null, s18, v5, 0
	v_mul_lo_u32 v5, s18, v6
	s_delay_alu instid0(VALU_DEP_2) | instskip(NEXT) | instid1(VALU_DEP_2)
	v_sub_co_u32 v3, vcc_lo, v1, v3
	v_add3_u32 v4, v4, v5, v7
	s_delay_alu instid0(VALU_DEP_1) | instskip(NEXT) | instid1(VALU_DEP_1)
	v_sub_nc_u32_e32 v5, 0, v4
	v_subrev_co_ci_u32_e64 v5, s2, s19, v5, vcc_lo
	v_sub_co_ci_u32_e32 v4, vcc_lo, 0, v4, vcc_lo
	v_sub_co_u32 v6, vcc_lo, v3, s18
	s_delay_alu instid0(VALU_DEP_1) | instskip(SKIP_3) | instid1(VALU_DEP_3)
	v_subrev_co_ci_u32_e64 v7, s2, 0, v5, vcc_lo
	v_cmp_le_u32_e64 s2, s18, v3
	v_subrev_co_ci_u32_e32 v5, vcc_lo, s19, v5, vcc_lo
	v_cmp_le_u32_e32 vcc_lo, s19, v4
	v_cndmask_b32_e64 v8, 0, -1, s2
	v_cmp_le_u32_e64 s2, s18, v6
	v_cndmask_b32_e64 v12, 0, -1, vcc_lo
	v_cmp_eq_u32_e32 vcc_lo, s19, v7
	s_delay_alu instid0(VALU_DEP_3) | instskip(SKIP_1) | instid1(VALU_DEP_1)
	v_cndmask_b32_e64 v9, 0, -1, s2
	v_cmp_le_u32_e64 s2, s19, v7
	v_cndmask_b32_e64 v10, 0, -1, s2
	v_cmp_eq_u32_e64 s2, s19, v4
	s_delay_alu instid0(VALU_DEP_2) | instskip(SKIP_2) | instid1(VALU_DEP_3)
	v_cndmask_b32_e32 v9, v10, v9, vcc_lo
	v_sub_co_u32 v10, vcc_lo, v6, s18
	v_subrev_co_ci_u32_e32 v5, vcc_lo, 0, v5, vcc_lo
	v_cmp_ne_u32_e32 vcc_lo, 0, v9
	v_cndmask_b32_e64 v8, v12, v8, s2
	s_delay_alu instid0(VALU_DEP_3) | instskip(NEXT) | instid1(VALU_DEP_2)
	v_dual_cndmask_b32 v5, v7, v5 :: v_dual_cndmask_b32 v6, v6, v10
	v_cmp_ne_u32_e32 vcc_lo, 0, v8
	s_delay_alu instid0(VALU_DEP_2) | instskip(NEXT) | instid1(VALU_DEP_1)
	v_dual_cndmask_b32 v3, v3, v6 :: v_dual_cndmask_b32 v4, v4, v5
	v_sub_co_u32 v7, vcc_lo, v3, 0
	s_delay_alu instid0(VALU_DEP_2)
	v_subrev_co_ci_u32_e32 v8, vcc_lo, 0, v4, vcc_lo
.LBB64_8:
	s_and_not1_saveexec_b32 s2, s3
	s_cbranch_execz .LBB64_10
; %bb.9:
	v_cvt_f32_u32_e32 v3, s14
	s_sub_i32 s3, 0, s14
	v_mov_b32_e32 v8, 0
	s_delay_alu instid0(VALU_DEP_2) | instskip(SKIP_2) | instid1(VALU_DEP_1)
	v_rcp_iflag_f32_e32 v3, v3
	s_waitcnt_depctr 0xfff
	v_mul_f32_e32 v3, 0x4f7ffffe, v3
	v_cvt_u32_f32_e32 v3, v3
	s_delay_alu instid0(VALU_DEP_1) | instskip(NEXT) | instid1(VALU_DEP_1)
	v_mul_lo_u32 v4, s3, v3
	v_mul_hi_u32 v4, v3, v4
	s_delay_alu instid0(VALU_DEP_1) | instskip(NEXT) | instid1(VALU_DEP_1)
	v_add_nc_u32_e32 v3, v3, v4
	v_mul_hi_u32 v3, v1, v3
	s_delay_alu instid0(VALU_DEP_1) | instskip(NEXT) | instid1(VALU_DEP_1)
	v_mul_lo_u32 v3, v3, s14
	v_sub_nc_u32_e32 v3, v1, v3
	s_delay_alu instid0(VALU_DEP_1) | instskip(SKIP_1) | instid1(VALU_DEP_2)
	v_subrev_nc_u32_e32 v4, s14, v3
	v_cmp_le_u32_e32 vcc_lo, s14, v3
	v_cndmask_b32_e32 v3, v3, v4, vcc_lo
	s_delay_alu instid0(VALU_DEP_1) | instskip(SKIP_1) | instid1(VALU_DEP_2)
	v_subrev_nc_u32_e32 v4, s14, v3
	v_cmp_le_u32_e32 vcc_lo, s14, v3
	v_cndmask_b32_e32 v7, v3, v4, vcc_lo
.LBB64_10:
	s_or_b32 exec_lo, exec_lo, s2
	v_lshlrev_b64 v[3:4], 3, v[1:2]
	s_delay_alu instid0(VALU_DEP_1) | instskip(NEXT) | instid1(VALU_DEP_2)
	v_add_co_u32 v3, vcc_lo, s10, v3
	v_add_co_ci_u32_e32 v4, vcc_lo, s11, v4, vcc_lo
	global_load_b64 v[3:4], v[3:4], off
	s_waitcnt vmcnt(0)
	v_sub_co_u32 v3, vcc_lo, v3, s12
	v_subrev_co_ci_u32_e32 v4, vcc_lo, 0, v4, vcc_lo
	s_delay_alu instid0(VALU_DEP_1)
	v_cmp_lt_i64_e32 vcc_lo, -1, v[3:4]
	s_and_b32 exec_lo, exec_lo, vcc_lo
	s_cbranch_execz .LBB64_39
; %bb.11:
	s_clause 0x1
	s_load_b128 s[12:15], s[0:1], 0x0
	s_load_b64 s[10:11], s[0:1], 0x40
	s_waitcnt lgkmcnt(0)
	s_cmp_eq_u32 s14, 1
	s_cselect_b32 s7, -1, 0
	s_cmpk_eq_i32 s12, 0x6f
	s_cselect_b32 s17, -1, 0
	s_cmpk_lg_i32 s12, 0x6f
	s_cselect_b32 s2, -1, 0
	s_cmp_lg_u32 s14, 1
	s_cbranch_scc0 .LBB64_15
; %bb.12:
	v_dual_mov_b32 v5, v7 :: v_dual_mov_b32 v6, v8
	s_and_not1_b32 vcc_lo, exec_lo, s17
	s_cbranch_vccnz .LBB64_14
; %bb.13:
	v_mul_lo_u32 v9, v8, s10
	v_mul_lo_u32 v10, v7, s11
	v_mad_u64_u32 v[5:6], null, v7, s10, 0
	s_delay_alu instid0(VALU_DEP_1)
	v_add3_u32 v6, v6, v10, v9
.LBB64_14:
	s_cbranch_execz .LBB64_16
	s_branch .LBB64_19
.LBB64_15:
                                        ; implicit-def: $vgpr5_vgpr6
.LBB64_16:
	s_and_not1_b32 vcc_lo, exec_lo, s2
	s_cbranch_vccnz .LBB64_18
; %bb.17:
	v_mul_lo_u32 v8, v8, s10
	v_mul_lo_u32 v9, v7, s11
	v_mad_u64_u32 v[5:6], null, v7, s10, 0
	s_delay_alu instid0(VALU_DEP_1) | instskip(NEXT) | instid1(VALU_DEP_1)
	v_add3_u32 v6, v6, v9, v8
	v_dual_mov_b32 v8, v6 :: v_dual_mov_b32 v7, v5
.LBB64_18:
	s_delay_alu instid0(VALU_DEP_1)
	v_dual_mov_b32 v5, v7 :: v_dual_mov_b32 v6, v8
.LBB64_19:
	s_cmp_eq_u32 s15, 1
	s_cselect_b32 s14, -1, 0
	s_cmpk_eq_i32 s13, 0x6f
	s_cselect_b32 s18, -1, 0
	s_cmpk_lg_i32 s13, 0x6f
	s_cselect_b32 s2, -1, 0
	s_cmp_lg_u32 s15, 1
	s_cbranch_scc0 .LBB64_23
; %bb.20:
	v_dual_mov_b32 v8, v4 :: v_dual_mov_b32 v7, v3
	s_and_not1_b32 vcc_lo, exec_lo, s2
	s_cbranch_vccnz .LBB64_22
; %bb.21:
	v_mul_lo_u32 v9, v4, s4
	v_mul_lo_u32 v10, v3, s5
	v_mad_u64_u32 v[7:8], null, v3, s4, 0
	s_delay_alu instid0(VALU_DEP_1)
	v_add3_u32 v8, v8, v10, v9
.LBB64_22:
	s_cbranch_execz .LBB64_24
	s_branch .LBB64_27
.LBB64_23:
                                        ; implicit-def: $vgpr7_vgpr8
.LBB64_24:
	s_and_not1_b32 vcc_lo, exec_lo, s18
	s_cbranch_vccnz .LBB64_26
; %bb.25:
	v_mul_lo_u32 v4, v4, s4
	v_mul_lo_u32 v9, v3, s5
	v_mad_u64_u32 v[7:8], null, v3, s4, 0
	s_delay_alu instid0(VALU_DEP_1) | instskip(NEXT) | instid1(VALU_DEP_1)
	v_add3_u32 v8, v8, v9, v4
	v_dual_mov_b32 v3, v7 :: v_dual_mov_b32 v4, v8
.LBB64_26:
	s_delay_alu instid0(VALU_DEP_1)
	v_dual_mov_b32 v8, v4 :: v_dual_mov_b32 v7, v3
.LBB64_27:
	s_load_b64 s[2:3], s[0:1], 0x60
	v_dual_mov_b32 v4, 0 :: v_dual_and_b32 v3, 7, v0
	s_mov_b32 s12, exec_lo
	s_delay_alu instid0(VALU_DEP_1)
	v_cmpx_gt_i64_e64 s[8:9], v[3:4]
	s_cbranch_execz .LBB64_31
; %bb.28:
	s_xor_b32 s7, s17, s7
	v_lshlrev_b64 v[7:8], 1, v[7:8]
	s_and_b32 s7, s7, exec_lo
	s_cselect_b32 s11, 0, s11
	s_cselect_b32 s10, 1, s10
	s_xor_b32 s7, s18, s14
	v_mad_u64_u32 v[9:10], null, s10, v3, 0
	s_and_b32 s7, s7, exec_lo
	s_cselect_b32 s4, s4, 1
	s_cselect_b32 s5, s5, 0
	v_mad_u64_u32 v[12:13], null, s4, v3, 0
	s_load_b64 s[14:15], s[0:1], 0x38
	s_delay_alu instid0(VALU_DEP_2) | instskip(SKIP_1) | instid1(VALU_DEP_2)
	v_mov_b32_e32 v0, v10
	s_load_b64 s[0:1], s[0:1], 0x48
	v_mov_b32_e32 v10, v13
	s_delay_alu instid0(VALU_DEP_2) | instskip(SKIP_2) | instid1(VALU_DEP_3)
	v_mad_u64_u32 v[13:14], null, s11, v3, v[0:1]
	v_mov_b32_e32 v0, 0
	s_lshl_b64 s[10:11], s[10:11], 4
	v_mad_u64_u32 v[14:15], null, s5, v3, v[10:11]
	v_lshlrev_b64 v[15:16], 1, v[5:6]
	v_mov_b32_e32 v6, v4
	v_dual_mov_b32 v10, v13 :: v_dual_mov_b32 v5, v3
	s_lshl_b64 s[4:5], s[4:5], 4
	s_delay_alu instid0(VALU_DEP_4) | instskip(NEXT) | instid1(VALU_DEP_2)
	v_mov_b32_e32 v13, v14
	v_lshlrev_b64 v[9:10], 1, v[9:10]
	s_delay_alu instid0(VALU_DEP_2) | instskip(NEXT) | instid1(VALU_DEP_2)
	v_lshlrev_b64 v[12:13], 1, v[12:13]
	v_add_co_u32 v4, vcc_lo, v9, v15
	s_delay_alu instid0(VALU_DEP_3) | instskip(NEXT) | instid1(VALU_DEP_3)
	v_add_co_ci_u32_e32 v9, vcc_lo, v10, v16, vcc_lo
	v_add_co_u32 v10, vcc_lo, v12, v7
	s_delay_alu instid0(VALU_DEP_4)
	v_add_co_ci_u32_e32 v12, vcc_lo, v13, v8, vcc_lo
	s_waitcnt lgkmcnt(0)
	v_add_co_u32 v7, vcc_lo, s14, v4
	v_add_co_ci_u32_e32 v8, vcc_lo, s15, v9, vcc_lo
	v_add_co_u32 v9, vcc_lo, s0, v10
	v_add_co_ci_u32_e32 v10, vcc_lo, s1, v12, vcc_lo
	v_mov_b32_e32 v4, v0
	s_mov_b32 s1, 0
	.p2align	6
.LBB64_29:                              ; =>This Inner Loop Header: Depth=1
	global_load_u16 v0, v[7:8], off
	global_load_u16 v12, v[9:10], off
	v_add_co_u32 v5, vcc_lo, v5, 8
	v_add_co_ci_u32_e32 v6, vcc_lo, 0, v6, vcc_lo
	v_add_co_u32 v9, vcc_lo, v9, s4
	v_add_co_ci_u32_e32 v10, vcc_lo, s5, v10, vcc_lo
	s_delay_alu instid0(VALU_DEP_3) | instskip(SKIP_1) | instid1(VALU_DEP_1)
	v_cmp_le_i64_e32 vcc_lo, s[8:9], v[5:6]
	v_add_co_u32 v7, s0, v7, s10
	v_add_co_ci_u32_e64 v8, s0, s11, v8, s0
	s_or_b32 s1, vcc_lo, s1
	s_waitcnt vmcnt(0)
	v_mul_f16_e32 v0, v0, v12
	s_delay_alu instid0(VALU_DEP_1) | instskip(NEXT) | instid1(VALU_DEP_1)
	v_cvt_f32_f16_e32 v0, v0
	v_add_f32_e32 v4, v4, v0
	s_and_not1_b32 exec_lo, exec_lo, s1
	s_cbranch_execnz .LBB64_29
; %bb.30:
	s_or_b32 exec_lo, exec_lo, s1
.LBB64_31:
	s_delay_alu instid0(SALU_CYCLE_1) | instskip(SKIP_2) | instid1(VALU_DEP_1)
	s_or_b32 exec_lo, exec_lo, s12
	v_lshlrev_b32_e32 v0, 2, v3
	s_mov_b32 s0, exec_lo
	v_lshl_or_b32 v0, v11, 5, v0
	ds_store_b32 v0, v4
	s_waitcnt lgkmcnt(0)
	s_barrier
	buffer_gl0_inv
	v_cmpx_gt_u32_e32 4, v3
	s_cbranch_execz .LBB64_33
; %bb.32:
	ds_load_2addr_b32 v[4:5], v0 offset1:4
	s_waitcnt lgkmcnt(0)
	v_add_f32_e32 v4, v5, v4
	ds_store_b32 v0, v4
.LBB64_33:
	s_or_b32 exec_lo, exec_lo, s0
	s_delay_alu instid0(SALU_CYCLE_1)
	s_mov_b32 s0, exec_lo
	s_waitcnt lgkmcnt(0)
	s_barrier
	buffer_gl0_inv
	v_cmpx_gt_u32_e32 2, v3
	s_cbranch_execz .LBB64_35
; %bb.34:
	ds_load_2addr_b32 v[4:5], v0 offset1:2
	s_waitcnt lgkmcnt(0)
	v_add_f32_e32 v4, v5, v4
	ds_store_b32 v0, v4
.LBB64_35:
	s_or_b32 exec_lo, exec_lo, s0
	v_cmp_eq_u32_e32 vcc_lo, 0, v3
	v_lshlrev_b32_e32 v3, 5, v11
	s_waitcnt lgkmcnt(0)
	s_barrier
	buffer_gl0_inv
	s_and_saveexec_b32 s0, vcc_lo
	s_cbranch_execz .LBB64_37
; %bb.36:
	ds_load_b32 v4, v3 offset:4
	ds_load_b32 v5, v0
	s_waitcnt lgkmcnt(0)
	v_add_f32_e32 v4, v4, v5
	ds_store_b32 v0, v4
.LBB64_37:
	s_or_b32 exec_lo, exec_lo, s0
	s_waitcnt lgkmcnt(0)
	s_barrier
	buffer_gl0_inv
	s_and_b32 exec_lo, exec_lo, vcc_lo
	s_cbranch_execz .LBB64_39
; %bb.38:
	v_lshlrev_b64 v[0:1], 2, v[1:2]
	ds_load_b32 v3, v3
	v_add_co_u32 v0, vcc_lo, s2, v0
	v_add_co_ci_u32_e32 v1, vcc_lo, s3, v1, vcc_lo
	global_load_b32 v2, v[0:1], off
	s_waitcnt lgkmcnt(0)
	v_mul_f32_e32 v3, s16, v3
	s_waitcnt vmcnt(0)
	s_delay_alu instid0(VALU_DEP_1)
	v_fmac_f32_e32 v3, s6, v2
	global_store_b32 v[0:1], v3, off
.LBB64_39:
	s_nop 0
	s_sendmsg sendmsg(MSG_DEALLOC_VGPRS)
	s_endpgm
	.section	.rodata,"a",@progbits
	.p2align	6, 0x0
	.amdhsa_kernel _ZN9rocsparseL16sddmm_ell_kernelILi512ELi8EfllDF16_DF16_fEEv20rocsparse_operation_S1_16rocsparse_order_S2_T3_S3_S3_T2_NS_24const_host_device_scalarIT1_EEPKT4_lPKT5_lS7_PT6_PKS3_21rocsparse_index_base_b
		.amdhsa_group_segment_fixed_size 2048
		.amdhsa_private_segment_fixed_size 0
		.amdhsa_kernarg_size 120
		.amdhsa_user_sgpr_count 15
		.amdhsa_user_sgpr_dispatch_ptr 0
		.amdhsa_user_sgpr_queue_ptr 0
		.amdhsa_user_sgpr_kernarg_segment_ptr 1
		.amdhsa_user_sgpr_dispatch_id 0
		.amdhsa_user_sgpr_private_segment_size 0
		.amdhsa_wavefront_size32 1
		.amdhsa_uses_dynamic_stack 0
		.amdhsa_enable_private_segment 0
		.amdhsa_system_sgpr_workgroup_id_x 1
		.amdhsa_system_sgpr_workgroup_id_y 0
		.amdhsa_system_sgpr_workgroup_id_z 0
		.amdhsa_system_sgpr_workgroup_info 0
		.amdhsa_system_vgpr_workitem_id 0
		.amdhsa_next_free_vgpr 17
		.amdhsa_next_free_sgpr 22
		.amdhsa_reserve_vcc 1
		.amdhsa_float_round_mode_32 0
		.amdhsa_float_round_mode_16_64 0
		.amdhsa_float_denorm_mode_32 3
		.amdhsa_float_denorm_mode_16_64 3
		.amdhsa_dx10_clamp 1
		.amdhsa_ieee_mode 1
		.amdhsa_fp16_overflow 0
		.amdhsa_workgroup_processor_mode 1
		.amdhsa_memory_ordered 1
		.amdhsa_forward_progress 0
		.amdhsa_shared_vgpr_count 0
		.amdhsa_exception_fp_ieee_invalid_op 0
		.amdhsa_exception_fp_denorm_src 0
		.amdhsa_exception_fp_ieee_div_zero 0
		.amdhsa_exception_fp_ieee_overflow 0
		.amdhsa_exception_fp_ieee_underflow 0
		.amdhsa_exception_fp_ieee_inexact 0
		.amdhsa_exception_int_div_zero 0
	.end_amdhsa_kernel
	.section	.text._ZN9rocsparseL16sddmm_ell_kernelILi512ELi8EfllDF16_DF16_fEEv20rocsparse_operation_S1_16rocsparse_order_S2_T3_S3_S3_T2_NS_24const_host_device_scalarIT1_EEPKT4_lPKT5_lS7_PT6_PKS3_21rocsparse_index_base_b,"axG",@progbits,_ZN9rocsparseL16sddmm_ell_kernelILi512ELi8EfllDF16_DF16_fEEv20rocsparse_operation_S1_16rocsparse_order_S2_T3_S3_S3_T2_NS_24const_host_device_scalarIT1_EEPKT4_lPKT5_lS7_PT6_PKS3_21rocsparse_index_base_b,comdat
.Lfunc_end64:
	.size	_ZN9rocsparseL16sddmm_ell_kernelILi512ELi8EfllDF16_DF16_fEEv20rocsparse_operation_S1_16rocsparse_order_S2_T3_S3_S3_T2_NS_24const_host_device_scalarIT1_EEPKT4_lPKT5_lS7_PT6_PKS3_21rocsparse_index_base_b, .Lfunc_end64-_ZN9rocsparseL16sddmm_ell_kernelILi512ELi8EfllDF16_DF16_fEEv20rocsparse_operation_S1_16rocsparse_order_S2_T3_S3_S3_T2_NS_24const_host_device_scalarIT1_EEPKT4_lPKT5_lS7_PT6_PKS3_21rocsparse_index_base_b
                                        ; -- End function
	.section	.AMDGPU.csdata,"",@progbits
; Kernel info:
; codeLenInByte = 2220
; NumSgprs: 24
; NumVgprs: 17
; ScratchSize: 0
; MemoryBound: 0
; FloatMode: 240
; IeeeMode: 1
; LDSByteSize: 2048 bytes/workgroup (compile time only)
; SGPRBlocks: 2
; VGPRBlocks: 2
; NumSGPRsForWavesPerEU: 24
; NumVGPRsForWavesPerEU: 17
; Occupancy: 16
; WaveLimiterHint : 0
; COMPUTE_PGM_RSRC2:SCRATCH_EN: 0
; COMPUTE_PGM_RSRC2:USER_SGPR: 15
; COMPUTE_PGM_RSRC2:TRAP_HANDLER: 0
; COMPUTE_PGM_RSRC2:TGID_X_EN: 1
; COMPUTE_PGM_RSRC2:TGID_Y_EN: 0
; COMPUTE_PGM_RSRC2:TGID_Z_EN: 0
; COMPUTE_PGM_RSRC2:TIDIG_COMP_CNT: 0
	.section	.text._ZN9rocsparseL16sddmm_ell_kernelILi512ELi4EfllDF16_DF16_fEEv20rocsparse_operation_S1_16rocsparse_order_S2_T3_S3_S3_T2_NS_24const_host_device_scalarIT1_EEPKT4_lPKT5_lS7_PT6_PKS3_21rocsparse_index_base_b,"axG",@progbits,_ZN9rocsparseL16sddmm_ell_kernelILi512ELi4EfllDF16_DF16_fEEv20rocsparse_operation_S1_16rocsparse_order_S2_T3_S3_S3_T2_NS_24const_host_device_scalarIT1_EEPKT4_lPKT5_lS7_PT6_PKS3_21rocsparse_index_base_b,comdat
	.globl	_ZN9rocsparseL16sddmm_ell_kernelILi512ELi4EfllDF16_DF16_fEEv20rocsparse_operation_S1_16rocsparse_order_S2_T3_S3_S3_T2_NS_24const_host_device_scalarIT1_EEPKT4_lPKT5_lS7_PT6_PKS3_21rocsparse_index_base_b ; -- Begin function _ZN9rocsparseL16sddmm_ell_kernelILi512ELi4EfllDF16_DF16_fEEv20rocsparse_operation_S1_16rocsparse_order_S2_T3_S3_S3_T2_NS_24const_host_device_scalarIT1_EEPKT4_lPKT5_lS7_PT6_PKS3_21rocsparse_index_base_b
	.p2align	8
	.type	_ZN9rocsparseL16sddmm_ell_kernelILi512ELi4EfllDF16_DF16_fEEv20rocsparse_operation_S1_16rocsparse_order_S2_T3_S3_S3_T2_NS_24const_host_device_scalarIT1_EEPKT4_lPKT5_lS7_PT6_PKS3_21rocsparse_index_base_b,@function
_ZN9rocsparseL16sddmm_ell_kernelILi512ELi4EfllDF16_DF16_fEEv20rocsparse_operation_S1_16rocsparse_order_S2_T3_S3_S3_T2_NS_24const_host_device_scalarIT1_EEPKT4_lPKT5_lS7_PT6_PKS3_21rocsparse_index_base_b: ; @_ZN9rocsparseL16sddmm_ell_kernelILi512ELi4EfllDF16_DF16_fEEv20rocsparse_operation_S1_16rocsparse_order_S2_T3_S3_S3_T2_NS_24const_host_device_scalarIT1_EEPKT4_lPKT5_lS7_PT6_PKS3_21rocsparse_index_base_b
; %bb.0:
	s_clause 0x2
	s_load_b64 s[12:13], s[0:1], 0x70
	s_load_b64 s[16:17], s[0:1], 0x30
	s_load_b128 s[4:7], s[0:1], 0x50
	s_waitcnt lgkmcnt(0)
	s_bitcmp1_b32 s13, 0
	s_cselect_b32 s2, -1, 0
	s_delay_alu instid0(SALU_CYCLE_1)
	s_and_b32 vcc_lo, exec_lo, s2
	s_xor_b32 s2, s2, -1
	s_cbranch_vccnz .LBB65_2
; %bb.1:
	s_load_b32 s16, s[16:17], 0x0
.LBB65_2:
	s_and_not1_b32 vcc_lo, exec_lo, s2
	s_cbranch_vccnz .LBB65_4
; %bb.3:
	s_load_b32 s6, s[6:7], 0x0
.LBB65_4:
	s_waitcnt lgkmcnt(0)
	v_cmp_eq_f32_e64 s2, s16, 0
	v_cmp_eq_f32_e64 s3, s6, 1.0
	s_delay_alu instid0(VALU_DEP_1) | instskip(NEXT) | instid1(SALU_CYCLE_1)
	s_and_b32 s2, s2, s3
	s_and_b32 vcc_lo, exec_lo, s2
	s_cbranch_vccnz .LBB65_37
; %bb.5:
	s_load_b128 s[8:11], s[0:1], 0x20
	v_lshrrev_b32_e32 v11, 2, v0
	v_mov_b32_e32 v2, 0
	s_mov_b32 s2, exec_lo
	s_delay_alu instid0(VALU_DEP_2) | instskip(SKIP_1) | instid1(VALU_DEP_1)
	v_lshl_or_b32 v1, s15, 7, v11
	s_waitcnt lgkmcnt(0)
	v_cmpx_gt_i64_e64 s[10:11], v[1:2]
	s_cbranch_execz .LBB65_37
; %bb.6:
	s_clause 0x1
	s_load_b64 s[14:15], s[0:1], 0x10
	s_load_b64 s[10:11], s[0:1], 0x68
	s_mov_b32 s2, 0
                                        ; implicit-def: $vgpr7_vgpr8
	s_waitcnt lgkmcnt(0)
	s_mov_b32 s3, s15
	s_delay_alu instid0(SALU_CYCLE_1) | instskip(SKIP_1) | instid1(SALU_CYCLE_1)
	s_cmp_lg_u64 s[2:3], 0
	s_cselect_b32 s2, -1, 0
	s_and_saveexec_b32 s3, s2
	s_delay_alu instid0(SALU_CYCLE_1)
	s_xor_b32 s3, exec_lo, s3
	s_cbranch_execz .LBB65_8
; %bb.7:
	s_ashr_i32 s18, s15, 31
	s_delay_alu instid0(SALU_CYCLE_1) | instskip(SKIP_2) | instid1(SALU_CYCLE_1)
	s_add_u32 s20, s14, s18
	s_mov_b32 s19, s18
	s_addc_u32 s21, s15, s18
	s_xor_b64 s[18:19], s[20:21], s[18:19]
	s_delay_alu instid0(SALU_CYCLE_1) | instskip(SKIP_3) | instid1(VALU_DEP_1)
	v_cvt_f32_u32_e32 v3, s18
	v_cvt_f32_u32_e32 v4, s19
	s_sub_u32 s2, 0, s18
	s_subb_u32 s7, 0, s19
	v_fmamk_f32 v3, v4, 0x4f800000, v3
	s_delay_alu instid0(VALU_DEP_1) | instskip(SKIP_2) | instid1(VALU_DEP_1)
	v_rcp_f32_e32 v3, v3
	s_waitcnt_depctr 0xfff
	v_mul_f32_e32 v3, 0x5f7ffffc, v3
	v_mul_f32_e32 v4, 0x2f800000, v3
	s_delay_alu instid0(VALU_DEP_1) | instskip(NEXT) | instid1(VALU_DEP_1)
	v_trunc_f32_e32 v4, v4
	v_fmamk_f32 v3, v4, 0xcf800000, v3
	v_cvt_u32_f32_e32 v4, v4
	s_delay_alu instid0(VALU_DEP_2) | instskip(NEXT) | instid1(VALU_DEP_2)
	v_cvt_u32_f32_e32 v3, v3
	v_mul_lo_u32 v5, s2, v4
	s_delay_alu instid0(VALU_DEP_2) | instskip(SKIP_1) | instid1(VALU_DEP_2)
	v_mul_hi_u32 v6, s2, v3
	v_mul_lo_u32 v7, s7, v3
	v_add_nc_u32_e32 v5, v6, v5
	v_mul_lo_u32 v6, s2, v3
	s_delay_alu instid0(VALU_DEP_2) | instskip(NEXT) | instid1(VALU_DEP_2)
	v_add_nc_u32_e32 v5, v5, v7
	v_mul_hi_u32 v7, v3, v6
	s_delay_alu instid0(VALU_DEP_2)
	v_mul_lo_u32 v8, v3, v5
	v_mul_hi_u32 v9, v3, v5
	v_mul_hi_u32 v10, v4, v6
	v_mul_lo_u32 v6, v4, v6
	v_mul_hi_u32 v12, v4, v5
	v_mul_lo_u32 v5, v4, v5
	v_add_co_u32 v7, vcc_lo, v7, v8
	v_add_co_ci_u32_e32 v8, vcc_lo, 0, v9, vcc_lo
	s_delay_alu instid0(VALU_DEP_2) | instskip(NEXT) | instid1(VALU_DEP_2)
	v_add_co_u32 v6, vcc_lo, v7, v6
	v_add_co_ci_u32_e32 v6, vcc_lo, v8, v10, vcc_lo
	v_add_co_ci_u32_e32 v7, vcc_lo, 0, v12, vcc_lo
	s_delay_alu instid0(VALU_DEP_2) | instskip(NEXT) | instid1(VALU_DEP_2)
	v_add_co_u32 v5, vcc_lo, v6, v5
	v_add_co_ci_u32_e32 v6, vcc_lo, 0, v7, vcc_lo
	s_delay_alu instid0(VALU_DEP_2) | instskip(NEXT) | instid1(VALU_DEP_2)
	v_add_co_u32 v3, vcc_lo, v3, v5
	v_add_co_ci_u32_e32 v4, vcc_lo, v4, v6, vcc_lo
	s_delay_alu instid0(VALU_DEP_2) | instskip(SKIP_1) | instid1(VALU_DEP_3)
	v_mul_hi_u32 v5, s2, v3
	v_mul_lo_u32 v7, s7, v3
	v_mul_lo_u32 v6, s2, v4
	s_delay_alu instid0(VALU_DEP_1) | instskip(SKIP_1) | instid1(VALU_DEP_2)
	v_add_nc_u32_e32 v5, v5, v6
	v_mul_lo_u32 v6, s2, v3
	v_add_nc_u32_e32 v5, v5, v7
	s_delay_alu instid0(VALU_DEP_2) | instskip(NEXT) | instid1(VALU_DEP_2)
	v_mul_hi_u32 v7, v3, v6
	v_mul_lo_u32 v8, v3, v5
	v_mul_hi_u32 v9, v3, v5
	v_mul_hi_u32 v10, v4, v6
	v_mul_lo_u32 v6, v4, v6
	v_mul_hi_u32 v12, v4, v5
	v_mul_lo_u32 v5, v4, v5
	v_add_co_u32 v7, vcc_lo, v7, v8
	v_add_co_ci_u32_e32 v8, vcc_lo, 0, v9, vcc_lo
	s_delay_alu instid0(VALU_DEP_2) | instskip(NEXT) | instid1(VALU_DEP_2)
	v_add_co_u32 v6, vcc_lo, v7, v6
	v_add_co_ci_u32_e32 v6, vcc_lo, v8, v10, vcc_lo
	v_add_co_ci_u32_e32 v7, vcc_lo, 0, v12, vcc_lo
	s_delay_alu instid0(VALU_DEP_2) | instskip(NEXT) | instid1(VALU_DEP_2)
	v_add_co_u32 v5, vcc_lo, v6, v5
	v_add_co_ci_u32_e32 v6, vcc_lo, 0, v7, vcc_lo
	s_delay_alu instid0(VALU_DEP_2) | instskip(NEXT) | instid1(VALU_DEP_2)
	v_add_co_u32 v7, vcc_lo, v3, v5
	v_add_co_ci_u32_e32 v9, vcc_lo, v4, v6, vcc_lo
	s_delay_alu instid0(VALU_DEP_2) | instskip(SKIP_1) | instid1(VALU_DEP_3)
	v_mul_hi_u32 v10, v1, v7
	v_mad_u64_u32 v[5:6], null, 0, v7, 0
	v_mad_u64_u32 v[3:4], null, v1, v9, 0
	;; [unrolled: 1-line block ×3, first 2 shown]
	s_delay_alu instid0(VALU_DEP_2) | instskip(NEXT) | instid1(VALU_DEP_3)
	v_add_co_u32 v3, vcc_lo, v10, v3
	v_add_co_ci_u32_e32 v4, vcc_lo, 0, v4, vcc_lo
	s_delay_alu instid0(VALU_DEP_2) | instskip(NEXT) | instid1(VALU_DEP_2)
	v_add_co_u32 v3, vcc_lo, v3, v5
	v_add_co_ci_u32_e32 v3, vcc_lo, v4, v6, vcc_lo
	v_add_co_ci_u32_e32 v4, vcc_lo, 0, v8, vcc_lo
	s_delay_alu instid0(VALU_DEP_2) | instskip(NEXT) | instid1(VALU_DEP_2)
	v_add_co_u32 v5, vcc_lo, v3, v7
	v_add_co_ci_u32_e32 v6, vcc_lo, 0, v4, vcc_lo
	s_delay_alu instid0(VALU_DEP_2) | instskip(SKIP_1) | instid1(VALU_DEP_3)
	v_mul_lo_u32 v7, s19, v5
	v_mad_u64_u32 v[3:4], null, s18, v5, 0
	v_mul_lo_u32 v5, s18, v6
	s_delay_alu instid0(VALU_DEP_2) | instskip(NEXT) | instid1(VALU_DEP_2)
	v_sub_co_u32 v3, vcc_lo, v1, v3
	v_add3_u32 v4, v4, v5, v7
	s_delay_alu instid0(VALU_DEP_1) | instskip(NEXT) | instid1(VALU_DEP_1)
	v_sub_nc_u32_e32 v5, 0, v4
	v_subrev_co_ci_u32_e64 v5, s2, s19, v5, vcc_lo
	v_sub_co_ci_u32_e32 v4, vcc_lo, 0, v4, vcc_lo
	v_sub_co_u32 v6, vcc_lo, v3, s18
	s_delay_alu instid0(VALU_DEP_1) | instskip(SKIP_3) | instid1(VALU_DEP_3)
	v_subrev_co_ci_u32_e64 v7, s2, 0, v5, vcc_lo
	v_cmp_le_u32_e64 s2, s18, v3
	v_subrev_co_ci_u32_e32 v5, vcc_lo, s19, v5, vcc_lo
	v_cmp_le_u32_e32 vcc_lo, s19, v4
	v_cndmask_b32_e64 v8, 0, -1, s2
	v_cmp_le_u32_e64 s2, s18, v6
	v_cndmask_b32_e64 v12, 0, -1, vcc_lo
	v_cmp_eq_u32_e32 vcc_lo, s19, v7
	s_delay_alu instid0(VALU_DEP_3) | instskip(SKIP_1) | instid1(VALU_DEP_1)
	v_cndmask_b32_e64 v9, 0, -1, s2
	v_cmp_le_u32_e64 s2, s19, v7
	v_cndmask_b32_e64 v10, 0, -1, s2
	v_cmp_eq_u32_e64 s2, s19, v4
	s_delay_alu instid0(VALU_DEP_2) | instskip(SKIP_2) | instid1(VALU_DEP_3)
	v_cndmask_b32_e32 v9, v10, v9, vcc_lo
	v_sub_co_u32 v10, vcc_lo, v6, s18
	v_subrev_co_ci_u32_e32 v5, vcc_lo, 0, v5, vcc_lo
	v_cmp_ne_u32_e32 vcc_lo, 0, v9
	v_cndmask_b32_e64 v8, v12, v8, s2
	s_delay_alu instid0(VALU_DEP_3) | instskip(NEXT) | instid1(VALU_DEP_2)
	v_dual_cndmask_b32 v5, v7, v5 :: v_dual_cndmask_b32 v6, v6, v10
	v_cmp_ne_u32_e32 vcc_lo, 0, v8
	s_delay_alu instid0(VALU_DEP_2) | instskip(NEXT) | instid1(VALU_DEP_1)
	v_dual_cndmask_b32 v3, v3, v6 :: v_dual_cndmask_b32 v4, v4, v5
	v_sub_co_u32 v7, vcc_lo, v3, 0
	s_delay_alu instid0(VALU_DEP_2)
	v_subrev_co_ci_u32_e32 v8, vcc_lo, 0, v4, vcc_lo
.LBB65_8:
	s_and_not1_saveexec_b32 s2, s3
	s_cbranch_execz .LBB65_10
; %bb.9:
	v_cvt_f32_u32_e32 v3, s14
	s_sub_i32 s3, 0, s14
	v_mov_b32_e32 v8, 0
	s_delay_alu instid0(VALU_DEP_2) | instskip(SKIP_2) | instid1(VALU_DEP_1)
	v_rcp_iflag_f32_e32 v3, v3
	s_waitcnt_depctr 0xfff
	v_mul_f32_e32 v3, 0x4f7ffffe, v3
	v_cvt_u32_f32_e32 v3, v3
	s_delay_alu instid0(VALU_DEP_1) | instskip(NEXT) | instid1(VALU_DEP_1)
	v_mul_lo_u32 v4, s3, v3
	v_mul_hi_u32 v4, v3, v4
	s_delay_alu instid0(VALU_DEP_1) | instskip(NEXT) | instid1(VALU_DEP_1)
	v_add_nc_u32_e32 v3, v3, v4
	v_mul_hi_u32 v3, v1, v3
	s_delay_alu instid0(VALU_DEP_1) | instskip(NEXT) | instid1(VALU_DEP_1)
	v_mul_lo_u32 v3, v3, s14
	v_sub_nc_u32_e32 v3, v1, v3
	s_delay_alu instid0(VALU_DEP_1) | instskip(SKIP_1) | instid1(VALU_DEP_2)
	v_subrev_nc_u32_e32 v4, s14, v3
	v_cmp_le_u32_e32 vcc_lo, s14, v3
	v_cndmask_b32_e32 v3, v3, v4, vcc_lo
	s_delay_alu instid0(VALU_DEP_1) | instskip(SKIP_1) | instid1(VALU_DEP_2)
	v_subrev_nc_u32_e32 v4, s14, v3
	v_cmp_le_u32_e32 vcc_lo, s14, v3
	v_cndmask_b32_e32 v7, v3, v4, vcc_lo
.LBB65_10:
	s_or_b32 exec_lo, exec_lo, s2
	v_lshlrev_b64 v[3:4], 3, v[1:2]
	s_delay_alu instid0(VALU_DEP_1) | instskip(NEXT) | instid1(VALU_DEP_2)
	v_add_co_u32 v3, vcc_lo, s10, v3
	v_add_co_ci_u32_e32 v4, vcc_lo, s11, v4, vcc_lo
	global_load_b64 v[3:4], v[3:4], off
	s_waitcnt vmcnt(0)
	v_sub_co_u32 v3, vcc_lo, v3, s12
	v_subrev_co_ci_u32_e32 v4, vcc_lo, 0, v4, vcc_lo
	s_delay_alu instid0(VALU_DEP_1)
	v_cmp_lt_i64_e32 vcc_lo, -1, v[3:4]
	s_and_b32 exec_lo, exec_lo, vcc_lo
	s_cbranch_execz .LBB65_37
; %bb.11:
	s_clause 0x1
	s_load_b128 s[12:15], s[0:1], 0x0
	s_load_b64 s[10:11], s[0:1], 0x40
	s_waitcnt lgkmcnt(0)
	s_cmp_eq_u32 s14, 1
	s_cselect_b32 s7, -1, 0
	s_cmpk_eq_i32 s12, 0x6f
	s_cselect_b32 s17, -1, 0
	s_cmpk_lg_i32 s12, 0x6f
	s_cselect_b32 s2, -1, 0
	s_cmp_lg_u32 s14, 1
	s_cbranch_scc0 .LBB65_15
; %bb.12:
	v_dual_mov_b32 v5, v7 :: v_dual_mov_b32 v6, v8
	s_and_not1_b32 vcc_lo, exec_lo, s17
	s_cbranch_vccnz .LBB65_14
; %bb.13:
	v_mul_lo_u32 v9, v8, s10
	v_mul_lo_u32 v10, v7, s11
	v_mad_u64_u32 v[5:6], null, v7, s10, 0
	s_delay_alu instid0(VALU_DEP_1)
	v_add3_u32 v6, v6, v10, v9
.LBB65_14:
	s_cbranch_execz .LBB65_16
	s_branch .LBB65_19
.LBB65_15:
                                        ; implicit-def: $vgpr5_vgpr6
.LBB65_16:
	s_and_not1_b32 vcc_lo, exec_lo, s2
	s_cbranch_vccnz .LBB65_18
; %bb.17:
	v_mul_lo_u32 v8, v8, s10
	v_mul_lo_u32 v9, v7, s11
	v_mad_u64_u32 v[5:6], null, v7, s10, 0
	s_delay_alu instid0(VALU_DEP_1) | instskip(NEXT) | instid1(VALU_DEP_1)
	v_add3_u32 v6, v6, v9, v8
	v_dual_mov_b32 v8, v6 :: v_dual_mov_b32 v7, v5
.LBB65_18:
	s_delay_alu instid0(VALU_DEP_1)
	v_dual_mov_b32 v5, v7 :: v_dual_mov_b32 v6, v8
.LBB65_19:
	s_cmp_eq_u32 s15, 1
	s_cselect_b32 s14, -1, 0
	s_cmpk_eq_i32 s13, 0x6f
	s_cselect_b32 s18, -1, 0
	s_cmpk_lg_i32 s13, 0x6f
	s_cselect_b32 s2, -1, 0
	s_cmp_lg_u32 s15, 1
	s_cbranch_scc0 .LBB65_23
; %bb.20:
	v_dual_mov_b32 v8, v4 :: v_dual_mov_b32 v7, v3
	s_and_not1_b32 vcc_lo, exec_lo, s2
	s_cbranch_vccnz .LBB65_22
; %bb.21:
	v_mul_lo_u32 v9, v4, s4
	v_mul_lo_u32 v10, v3, s5
	v_mad_u64_u32 v[7:8], null, v3, s4, 0
	s_delay_alu instid0(VALU_DEP_1)
	v_add3_u32 v8, v8, v10, v9
.LBB65_22:
	s_cbranch_execz .LBB65_24
	s_branch .LBB65_27
.LBB65_23:
                                        ; implicit-def: $vgpr7_vgpr8
.LBB65_24:
	s_and_not1_b32 vcc_lo, exec_lo, s18
	s_cbranch_vccnz .LBB65_26
; %bb.25:
	v_mul_lo_u32 v4, v4, s4
	v_mul_lo_u32 v9, v3, s5
	v_mad_u64_u32 v[7:8], null, v3, s4, 0
	s_delay_alu instid0(VALU_DEP_1) | instskip(NEXT) | instid1(VALU_DEP_1)
	v_add3_u32 v8, v8, v9, v4
	v_dual_mov_b32 v3, v7 :: v_dual_mov_b32 v4, v8
.LBB65_26:
	s_delay_alu instid0(VALU_DEP_1)
	v_dual_mov_b32 v8, v4 :: v_dual_mov_b32 v7, v3
.LBB65_27:
	s_load_b64 s[2:3], s[0:1], 0x60
	v_dual_mov_b32 v4, 0 :: v_dual_and_b32 v3, 3, v0
	s_mov_b32 s12, exec_lo
	s_delay_alu instid0(VALU_DEP_1)
	v_cmpx_gt_i64_e64 s[8:9], v[3:4]
	s_cbranch_execz .LBB65_31
; %bb.28:
	s_xor_b32 s7, s17, s7
	v_lshlrev_b64 v[7:8], 1, v[7:8]
	s_and_b32 s7, s7, exec_lo
	s_cselect_b32 s11, 0, s11
	s_cselect_b32 s10, 1, s10
	s_xor_b32 s7, s18, s14
	v_mad_u64_u32 v[9:10], null, s10, v3, 0
	s_and_b32 s7, s7, exec_lo
	s_cselect_b32 s4, s4, 1
	s_cselect_b32 s5, s5, 0
	v_mad_u64_u32 v[12:13], null, s4, v3, 0
	s_load_b64 s[14:15], s[0:1], 0x38
	s_delay_alu instid0(VALU_DEP_2) | instskip(SKIP_1) | instid1(VALU_DEP_2)
	v_mov_b32_e32 v0, v10
	s_load_b64 s[0:1], s[0:1], 0x48
	v_mov_b32_e32 v10, v13
	s_delay_alu instid0(VALU_DEP_2) | instskip(SKIP_2) | instid1(VALU_DEP_3)
	v_mad_u64_u32 v[13:14], null, s11, v3, v[0:1]
	v_mov_b32_e32 v0, 0
	s_lshl_b64 s[10:11], s[10:11], 3
	v_mad_u64_u32 v[14:15], null, s5, v3, v[10:11]
	v_lshlrev_b64 v[15:16], 1, v[5:6]
	v_mov_b32_e32 v6, v4
	v_dual_mov_b32 v10, v13 :: v_dual_mov_b32 v5, v3
	s_lshl_b64 s[4:5], s[4:5], 3
	s_delay_alu instid0(VALU_DEP_4) | instskip(NEXT) | instid1(VALU_DEP_2)
	v_mov_b32_e32 v13, v14
	v_lshlrev_b64 v[9:10], 1, v[9:10]
	s_delay_alu instid0(VALU_DEP_2) | instskip(NEXT) | instid1(VALU_DEP_2)
	v_lshlrev_b64 v[12:13], 1, v[12:13]
	v_add_co_u32 v4, vcc_lo, v9, v15
	s_delay_alu instid0(VALU_DEP_3) | instskip(NEXT) | instid1(VALU_DEP_3)
	v_add_co_ci_u32_e32 v9, vcc_lo, v10, v16, vcc_lo
	v_add_co_u32 v10, vcc_lo, v12, v7
	s_delay_alu instid0(VALU_DEP_4)
	v_add_co_ci_u32_e32 v12, vcc_lo, v13, v8, vcc_lo
	s_waitcnt lgkmcnt(0)
	v_add_co_u32 v7, vcc_lo, s14, v4
	v_add_co_ci_u32_e32 v8, vcc_lo, s15, v9, vcc_lo
	v_add_co_u32 v9, vcc_lo, s0, v10
	v_add_co_ci_u32_e32 v10, vcc_lo, s1, v12, vcc_lo
	v_mov_b32_e32 v4, v0
	s_mov_b32 s1, 0
	.p2align	6
.LBB65_29:                              ; =>This Inner Loop Header: Depth=1
	global_load_u16 v0, v[7:8], off
	global_load_u16 v12, v[9:10], off
	v_add_co_u32 v5, vcc_lo, v5, 4
	v_add_co_ci_u32_e32 v6, vcc_lo, 0, v6, vcc_lo
	v_add_co_u32 v9, vcc_lo, v9, s4
	v_add_co_ci_u32_e32 v10, vcc_lo, s5, v10, vcc_lo
	s_delay_alu instid0(VALU_DEP_3) | instskip(SKIP_1) | instid1(VALU_DEP_1)
	v_cmp_le_i64_e32 vcc_lo, s[8:9], v[5:6]
	v_add_co_u32 v7, s0, v7, s10
	v_add_co_ci_u32_e64 v8, s0, s11, v8, s0
	s_or_b32 s1, vcc_lo, s1
	s_waitcnt vmcnt(0)
	v_mul_f16_e32 v0, v0, v12
	s_delay_alu instid0(VALU_DEP_1) | instskip(NEXT) | instid1(VALU_DEP_1)
	v_cvt_f32_f16_e32 v0, v0
	v_add_f32_e32 v4, v4, v0
	s_and_not1_b32 exec_lo, exec_lo, s1
	s_cbranch_execnz .LBB65_29
; %bb.30:
	s_or_b32 exec_lo, exec_lo, s1
.LBB65_31:
	s_delay_alu instid0(SALU_CYCLE_1) | instskip(SKIP_2) | instid1(VALU_DEP_1)
	s_or_b32 exec_lo, exec_lo, s12
	v_lshlrev_b32_e32 v0, 2, v3
	s_mov_b32 s0, exec_lo
	v_lshl_or_b32 v0, v11, 4, v0
	ds_store_b32 v0, v4
	s_waitcnt lgkmcnt(0)
	s_barrier
	buffer_gl0_inv
	v_cmpx_gt_u32_e32 2, v3
	s_cbranch_execz .LBB65_33
; %bb.32:
	ds_load_2addr_b32 v[4:5], v0 offset1:2
	s_waitcnt lgkmcnt(0)
	v_add_f32_e32 v4, v5, v4
	ds_store_b32 v0, v4
.LBB65_33:
	s_or_b32 exec_lo, exec_lo, s0
	v_cmp_eq_u32_e32 vcc_lo, 0, v3
	v_lshlrev_b32_e32 v3, 4, v11
	s_waitcnt lgkmcnt(0)
	s_barrier
	buffer_gl0_inv
	s_and_saveexec_b32 s0, vcc_lo
	s_cbranch_execz .LBB65_35
; %bb.34:
	ds_load_b32 v4, v3 offset:4
	ds_load_b32 v5, v0
	s_waitcnt lgkmcnt(0)
	v_add_f32_e32 v4, v4, v5
	ds_store_b32 v0, v4
.LBB65_35:
	s_or_b32 exec_lo, exec_lo, s0
	s_waitcnt lgkmcnt(0)
	s_barrier
	buffer_gl0_inv
	s_and_b32 exec_lo, exec_lo, vcc_lo
	s_cbranch_execz .LBB65_37
; %bb.36:
	v_lshlrev_b64 v[0:1], 2, v[1:2]
	ds_load_b32 v3, v3
	v_add_co_u32 v0, vcc_lo, s2, v0
	v_add_co_ci_u32_e32 v1, vcc_lo, s3, v1, vcc_lo
	global_load_b32 v2, v[0:1], off
	s_waitcnt lgkmcnt(0)
	v_mul_f32_e32 v3, s16, v3
	s_waitcnt vmcnt(0)
	s_delay_alu instid0(VALU_DEP_1)
	v_fmac_f32_e32 v3, s6, v2
	global_store_b32 v[0:1], v3, off
.LBB65_37:
	s_nop 0
	s_sendmsg sendmsg(MSG_DEALLOC_VGPRS)
	s_endpgm
	.section	.rodata,"a",@progbits
	.p2align	6, 0x0
	.amdhsa_kernel _ZN9rocsparseL16sddmm_ell_kernelILi512ELi4EfllDF16_DF16_fEEv20rocsparse_operation_S1_16rocsparse_order_S2_T3_S3_S3_T2_NS_24const_host_device_scalarIT1_EEPKT4_lPKT5_lS7_PT6_PKS3_21rocsparse_index_base_b
		.amdhsa_group_segment_fixed_size 2048
		.amdhsa_private_segment_fixed_size 0
		.amdhsa_kernarg_size 120
		.amdhsa_user_sgpr_count 15
		.amdhsa_user_sgpr_dispatch_ptr 0
		.amdhsa_user_sgpr_queue_ptr 0
		.amdhsa_user_sgpr_kernarg_segment_ptr 1
		.amdhsa_user_sgpr_dispatch_id 0
		.amdhsa_user_sgpr_private_segment_size 0
		.amdhsa_wavefront_size32 1
		.amdhsa_uses_dynamic_stack 0
		.amdhsa_enable_private_segment 0
		.amdhsa_system_sgpr_workgroup_id_x 1
		.amdhsa_system_sgpr_workgroup_id_y 0
		.amdhsa_system_sgpr_workgroup_id_z 0
		.amdhsa_system_sgpr_workgroup_info 0
		.amdhsa_system_vgpr_workitem_id 0
		.amdhsa_next_free_vgpr 17
		.amdhsa_next_free_sgpr 22
		.amdhsa_reserve_vcc 1
		.amdhsa_float_round_mode_32 0
		.amdhsa_float_round_mode_16_64 0
		.amdhsa_float_denorm_mode_32 3
		.amdhsa_float_denorm_mode_16_64 3
		.amdhsa_dx10_clamp 1
		.amdhsa_ieee_mode 1
		.amdhsa_fp16_overflow 0
		.amdhsa_workgroup_processor_mode 1
		.amdhsa_memory_ordered 1
		.amdhsa_forward_progress 0
		.amdhsa_shared_vgpr_count 0
		.amdhsa_exception_fp_ieee_invalid_op 0
		.amdhsa_exception_fp_denorm_src 0
		.amdhsa_exception_fp_ieee_div_zero 0
		.amdhsa_exception_fp_ieee_overflow 0
		.amdhsa_exception_fp_ieee_underflow 0
		.amdhsa_exception_fp_ieee_inexact 0
		.amdhsa_exception_int_div_zero 0
	.end_amdhsa_kernel
	.section	.text._ZN9rocsparseL16sddmm_ell_kernelILi512ELi4EfllDF16_DF16_fEEv20rocsparse_operation_S1_16rocsparse_order_S2_T3_S3_S3_T2_NS_24const_host_device_scalarIT1_EEPKT4_lPKT5_lS7_PT6_PKS3_21rocsparse_index_base_b,"axG",@progbits,_ZN9rocsparseL16sddmm_ell_kernelILi512ELi4EfllDF16_DF16_fEEv20rocsparse_operation_S1_16rocsparse_order_S2_T3_S3_S3_T2_NS_24const_host_device_scalarIT1_EEPKT4_lPKT5_lS7_PT6_PKS3_21rocsparse_index_base_b,comdat
.Lfunc_end65:
	.size	_ZN9rocsparseL16sddmm_ell_kernelILi512ELi4EfllDF16_DF16_fEEv20rocsparse_operation_S1_16rocsparse_order_S2_T3_S3_S3_T2_NS_24const_host_device_scalarIT1_EEPKT4_lPKT5_lS7_PT6_PKS3_21rocsparse_index_base_b, .Lfunc_end65-_ZN9rocsparseL16sddmm_ell_kernelILi512ELi4EfllDF16_DF16_fEEv20rocsparse_operation_S1_16rocsparse_order_S2_T3_S3_S3_T2_NS_24const_host_device_scalarIT1_EEPKT4_lPKT5_lS7_PT6_PKS3_21rocsparse_index_base_b
                                        ; -- End function
	.section	.AMDGPU.csdata,"",@progbits
; Kernel info:
; codeLenInByte = 2160
; NumSgprs: 24
; NumVgprs: 17
; ScratchSize: 0
; MemoryBound: 0
; FloatMode: 240
; IeeeMode: 1
; LDSByteSize: 2048 bytes/workgroup (compile time only)
; SGPRBlocks: 2
; VGPRBlocks: 2
; NumSGPRsForWavesPerEU: 24
; NumVGPRsForWavesPerEU: 17
; Occupancy: 16
; WaveLimiterHint : 0
; COMPUTE_PGM_RSRC2:SCRATCH_EN: 0
; COMPUTE_PGM_RSRC2:USER_SGPR: 15
; COMPUTE_PGM_RSRC2:TRAP_HANDLER: 0
; COMPUTE_PGM_RSRC2:TGID_X_EN: 1
; COMPUTE_PGM_RSRC2:TGID_Y_EN: 0
; COMPUTE_PGM_RSRC2:TGID_Z_EN: 0
; COMPUTE_PGM_RSRC2:TIDIG_COMP_CNT: 0
	.section	.text._ZN9rocsparseL16sddmm_ell_kernelILi512ELi2EfllDF16_DF16_fEEv20rocsparse_operation_S1_16rocsparse_order_S2_T3_S3_S3_T2_NS_24const_host_device_scalarIT1_EEPKT4_lPKT5_lS7_PT6_PKS3_21rocsparse_index_base_b,"axG",@progbits,_ZN9rocsparseL16sddmm_ell_kernelILi512ELi2EfllDF16_DF16_fEEv20rocsparse_operation_S1_16rocsparse_order_S2_T3_S3_S3_T2_NS_24const_host_device_scalarIT1_EEPKT4_lPKT5_lS7_PT6_PKS3_21rocsparse_index_base_b,comdat
	.globl	_ZN9rocsparseL16sddmm_ell_kernelILi512ELi2EfllDF16_DF16_fEEv20rocsparse_operation_S1_16rocsparse_order_S2_T3_S3_S3_T2_NS_24const_host_device_scalarIT1_EEPKT4_lPKT5_lS7_PT6_PKS3_21rocsparse_index_base_b ; -- Begin function _ZN9rocsparseL16sddmm_ell_kernelILi512ELi2EfllDF16_DF16_fEEv20rocsparse_operation_S1_16rocsparse_order_S2_T3_S3_S3_T2_NS_24const_host_device_scalarIT1_EEPKT4_lPKT5_lS7_PT6_PKS3_21rocsparse_index_base_b
	.p2align	8
	.type	_ZN9rocsparseL16sddmm_ell_kernelILi512ELi2EfllDF16_DF16_fEEv20rocsparse_operation_S1_16rocsparse_order_S2_T3_S3_S3_T2_NS_24const_host_device_scalarIT1_EEPKT4_lPKT5_lS7_PT6_PKS3_21rocsparse_index_base_b,@function
_ZN9rocsparseL16sddmm_ell_kernelILi512ELi2EfllDF16_DF16_fEEv20rocsparse_operation_S1_16rocsparse_order_S2_T3_S3_S3_T2_NS_24const_host_device_scalarIT1_EEPKT4_lPKT5_lS7_PT6_PKS3_21rocsparse_index_base_b: ; @_ZN9rocsparseL16sddmm_ell_kernelILi512ELi2EfllDF16_DF16_fEEv20rocsparse_operation_S1_16rocsparse_order_S2_T3_S3_S3_T2_NS_24const_host_device_scalarIT1_EEPKT4_lPKT5_lS7_PT6_PKS3_21rocsparse_index_base_b
; %bb.0:
	s_clause 0x2
	s_load_b64 s[12:13], s[0:1], 0x70
	s_load_b64 s[16:17], s[0:1], 0x30
	s_load_b128 s[4:7], s[0:1], 0x50
	s_waitcnt lgkmcnt(0)
	s_bitcmp1_b32 s13, 0
	s_cselect_b32 s2, -1, 0
	s_delay_alu instid0(SALU_CYCLE_1)
	s_and_b32 vcc_lo, exec_lo, s2
	s_xor_b32 s2, s2, -1
	s_cbranch_vccnz .LBB66_2
; %bb.1:
	s_load_b32 s16, s[16:17], 0x0
.LBB66_2:
	s_and_not1_b32 vcc_lo, exec_lo, s2
	s_cbranch_vccnz .LBB66_4
; %bb.3:
	s_load_b32 s6, s[6:7], 0x0
.LBB66_4:
	s_waitcnt lgkmcnt(0)
	v_cmp_eq_f32_e64 s2, s16, 0
	v_cmp_eq_f32_e64 s3, s6, 1.0
	s_delay_alu instid0(VALU_DEP_1) | instskip(NEXT) | instid1(SALU_CYCLE_1)
	s_and_b32 s2, s2, s3
	s_and_b32 vcc_lo, exec_lo, s2
	s_cbranch_vccnz .LBB66_35
; %bb.5:
	s_load_b128 s[8:11], s[0:1], 0x20
	v_lshrrev_b32_e32 v11, 1, v0
	v_mov_b32_e32 v2, 0
	s_mov_b32 s2, exec_lo
	s_delay_alu instid0(VALU_DEP_2) | instskip(SKIP_1) | instid1(VALU_DEP_1)
	v_lshl_or_b32 v1, s15, 8, v11
	s_waitcnt lgkmcnt(0)
	v_cmpx_gt_i64_e64 s[10:11], v[1:2]
	s_cbranch_execz .LBB66_35
; %bb.6:
	s_clause 0x1
	s_load_b64 s[14:15], s[0:1], 0x10
	s_load_b64 s[10:11], s[0:1], 0x68
	s_mov_b32 s2, 0
                                        ; implicit-def: $vgpr7_vgpr8
	s_waitcnt lgkmcnt(0)
	s_mov_b32 s3, s15
	s_delay_alu instid0(SALU_CYCLE_1) | instskip(SKIP_1) | instid1(SALU_CYCLE_1)
	s_cmp_lg_u64 s[2:3], 0
	s_cselect_b32 s2, -1, 0
	s_and_saveexec_b32 s3, s2
	s_delay_alu instid0(SALU_CYCLE_1)
	s_xor_b32 s3, exec_lo, s3
	s_cbranch_execz .LBB66_8
; %bb.7:
	s_ashr_i32 s18, s15, 31
	s_delay_alu instid0(SALU_CYCLE_1) | instskip(SKIP_2) | instid1(SALU_CYCLE_1)
	s_add_u32 s20, s14, s18
	s_mov_b32 s19, s18
	s_addc_u32 s21, s15, s18
	s_xor_b64 s[18:19], s[20:21], s[18:19]
	s_delay_alu instid0(SALU_CYCLE_1) | instskip(SKIP_3) | instid1(VALU_DEP_1)
	v_cvt_f32_u32_e32 v3, s18
	v_cvt_f32_u32_e32 v4, s19
	s_sub_u32 s2, 0, s18
	s_subb_u32 s7, 0, s19
	v_fmamk_f32 v3, v4, 0x4f800000, v3
	s_delay_alu instid0(VALU_DEP_1) | instskip(SKIP_2) | instid1(VALU_DEP_1)
	v_rcp_f32_e32 v3, v3
	s_waitcnt_depctr 0xfff
	v_mul_f32_e32 v3, 0x5f7ffffc, v3
	v_mul_f32_e32 v4, 0x2f800000, v3
	s_delay_alu instid0(VALU_DEP_1) | instskip(NEXT) | instid1(VALU_DEP_1)
	v_trunc_f32_e32 v4, v4
	v_fmamk_f32 v3, v4, 0xcf800000, v3
	v_cvt_u32_f32_e32 v4, v4
	s_delay_alu instid0(VALU_DEP_2) | instskip(NEXT) | instid1(VALU_DEP_2)
	v_cvt_u32_f32_e32 v3, v3
	v_mul_lo_u32 v5, s2, v4
	s_delay_alu instid0(VALU_DEP_2) | instskip(SKIP_1) | instid1(VALU_DEP_2)
	v_mul_hi_u32 v6, s2, v3
	v_mul_lo_u32 v7, s7, v3
	v_add_nc_u32_e32 v5, v6, v5
	v_mul_lo_u32 v6, s2, v3
	s_delay_alu instid0(VALU_DEP_2) | instskip(NEXT) | instid1(VALU_DEP_2)
	v_add_nc_u32_e32 v5, v5, v7
	v_mul_hi_u32 v7, v3, v6
	s_delay_alu instid0(VALU_DEP_2)
	v_mul_lo_u32 v8, v3, v5
	v_mul_hi_u32 v9, v3, v5
	v_mul_hi_u32 v10, v4, v6
	v_mul_lo_u32 v6, v4, v6
	v_mul_hi_u32 v12, v4, v5
	v_mul_lo_u32 v5, v4, v5
	v_add_co_u32 v7, vcc_lo, v7, v8
	v_add_co_ci_u32_e32 v8, vcc_lo, 0, v9, vcc_lo
	s_delay_alu instid0(VALU_DEP_2) | instskip(NEXT) | instid1(VALU_DEP_2)
	v_add_co_u32 v6, vcc_lo, v7, v6
	v_add_co_ci_u32_e32 v6, vcc_lo, v8, v10, vcc_lo
	v_add_co_ci_u32_e32 v7, vcc_lo, 0, v12, vcc_lo
	s_delay_alu instid0(VALU_DEP_2) | instskip(NEXT) | instid1(VALU_DEP_2)
	v_add_co_u32 v5, vcc_lo, v6, v5
	v_add_co_ci_u32_e32 v6, vcc_lo, 0, v7, vcc_lo
	s_delay_alu instid0(VALU_DEP_2) | instskip(NEXT) | instid1(VALU_DEP_2)
	v_add_co_u32 v3, vcc_lo, v3, v5
	v_add_co_ci_u32_e32 v4, vcc_lo, v4, v6, vcc_lo
	s_delay_alu instid0(VALU_DEP_2) | instskip(SKIP_1) | instid1(VALU_DEP_3)
	v_mul_hi_u32 v5, s2, v3
	v_mul_lo_u32 v7, s7, v3
	v_mul_lo_u32 v6, s2, v4
	s_delay_alu instid0(VALU_DEP_1) | instskip(SKIP_1) | instid1(VALU_DEP_2)
	v_add_nc_u32_e32 v5, v5, v6
	v_mul_lo_u32 v6, s2, v3
	v_add_nc_u32_e32 v5, v5, v7
	s_delay_alu instid0(VALU_DEP_2) | instskip(NEXT) | instid1(VALU_DEP_2)
	v_mul_hi_u32 v7, v3, v6
	v_mul_lo_u32 v8, v3, v5
	v_mul_hi_u32 v9, v3, v5
	v_mul_hi_u32 v10, v4, v6
	v_mul_lo_u32 v6, v4, v6
	v_mul_hi_u32 v12, v4, v5
	v_mul_lo_u32 v5, v4, v5
	v_add_co_u32 v7, vcc_lo, v7, v8
	v_add_co_ci_u32_e32 v8, vcc_lo, 0, v9, vcc_lo
	s_delay_alu instid0(VALU_DEP_2) | instskip(NEXT) | instid1(VALU_DEP_2)
	v_add_co_u32 v6, vcc_lo, v7, v6
	v_add_co_ci_u32_e32 v6, vcc_lo, v8, v10, vcc_lo
	v_add_co_ci_u32_e32 v7, vcc_lo, 0, v12, vcc_lo
	s_delay_alu instid0(VALU_DEP_2) | instskip(NEXT) | instid1(VALU_DEP_2)
	v_add_co_u32 v5, vcc_lo, v6, v5
	v_add_co_ci_u32_e32 v6, vcc_lo, 0, v7, vcc_lo
	s_delay_alu instid0(VALU_DEP_2) | instskip(NEXT) | instid1(VALU_DEP_2)
	v_add_co_u32 v7, vcc_lo, v3, v5
	v_add_co_ci_u32_e32 v9, vcc_lo, v4, v6, vcc_lo
	s_delay_alu instid0(VALU_DEP_2) | instskip(SKIP_1) | instid1(VALU_DEP_3)
	v_mul_hi_u32 v10, v1, v7
	v_mad_u64_u32 v[5:6], null, 0, v7, 0
	v_mad_u64_u32 v[3:4], null, v1, v9, 0
	;; [unrolled: 1-line block ×3, first 2 shown]
	s_delay_alu instid0(VALU_DEP_2) | instskip(NEXT) | instid1(VALU_DEP_3)
	v_add_co_u32 v3, vcc_lo, v10, v3
	v_add_co_ci_u32_e32 v4, vcc_lo, 0, v4, vcc_lo
	s_delay_alu instid0(VALU_DEP_2) | instskip(NEXT) | instid1(VALU_DEP_2)
	v_add_co_u32 v3, vcc_lo, v3, v5
	v_add_co_ci_u32_e32 v3, vcc_lo, v4, v6, vcc_lo
	v_add_co_ci_u32_e32 v4, vcc_lo, 0, v8, vcc_lo
	s_delay_alu instid0(VALU_DEP_2) | instskip(NEXT) | instid1(VALU_DEP_2)
	v_add_co_u32 v5, vcc_lo, v3, v7
	v_add_co_ci_u32_e32 v6, vcc_lo, 0, v4, vcc_lo
	s_delay_alu instid0(VALU_DEP_2) | instskip(SKIP_1) | instid1(VALU_DEP_3)
	v_mul_lo_u32 v7, s19, v5
	v_mad_u64_u32 v[3:4], null, s18, v5, 0
	v_mul_lo_u32 v5, s18, v6
	s_delay_alu instid0(VALU_DEP_2) | instskip(NEXT) | instid1(VALU_DEP_2)
	v_sub_co_u32 v3, vcc_lo, v1, v3
	v_add3_u32 v4, v4, v5, v7
	s_delay_alu instid0(VALU_DEP_1) | instskip(NEXT) | instid1(VALU_DEP_1)
	v_sub_nc_u32_e32 v5, 0, v4
	v_subrev_co_ci_u32_e64 v5, s2, s19, v5, vcc_lo
	v_sub_co_ci_u32_e32 v4, vcc_lo, 0, v4, vcc_lo
	v_sub_co_u32 v6, vcc_lo, v3, s18
	s_delay_alu instid0(VALU_DEP_1) | instskip(SKIP_3) | instid1(VALU_DEP_3)
	v_subrev_co_ci_u32_e64 v7, s2, 0, v5, vcc_lo
	v_cmp_le_u32_e64 s2, s18, v3
	v_subrev_co_ci_u32_e32 v5, vcc_lo, s19, v5, vcc_lo
	v_cmp_le_u32_e32 vcc_lo, s19, v4
	v_cndmask_b32_e64 v8, 0, -1, s2
	v_cmp_le_u32_e64 s2, s18, v6
	v_cndmask_b32_e64 v12, 0, -1, vcc_lo
	v_cmp_eq_u32_e32 vcc_lo, s19, v7
	s_delay_alu instid0(VALU_DEP_3) | instskip(SKIP_1) | instid1(VALU_DEP_1)
	v_cndmask_b32_e64 v9, 0, -1, s2
	v_cmp_le_u32_e64 s2, s19, v7
	v_cndmask_b32_e64 v10, 0, -1, s2
	v_cmp_eq_u32_e64 s2, s19, v4
	s_delay_alu instid0(VALU_DEP_2) | instskip(SKIP_2) | instid1(VALU_DEP_3)
	v_cndmask_b32_e32 v9, v10, v9, vcc_lo
	v_sub_co_u32 v10, vcc_lo, v6, s18
	v_subrev_co_ci_u32_e32 v5, vcc_lo, 0, v5, vcc_lo
	v_cmp_ne_u32_e32 vcc_lo, 0, v9
	v_cndmask_b32_e64 v8, v12, v8, s2
	s_delay_alu instid0(VALU_DEP_3) | instskip(NEXT) | instid1(VALU_DEP_2)
	v_dual_cndmask_b32 v5, v7, v5 :: v_dual_cndmask_b32 v6, v6, v10
	v_cmp_ne_u32_e32 vcc_lo, 0, v8
	s_delay_alu instid0(VALU_DEP_2) | instskip(NEXT) | instid1(VALU_DEP_1)
	v_dual_cndmask_b32 v3, v3, v6 :: v_dual_cndmask_b32 v4, v4, v5
	v_sub_co_u32 v7, vcc_lo, v3, 0
	s_delay_alu instid0(VALU_DEP_2)
	v_subrev_co_ci_u32_e32 v8, vcc_lo, 0, v4, vcc_lo
.LBB66_8:
	s_and_not1_saveexec_b32 s2, s3
	s_cbranch_execz .LBB66_10
; %bb.9:
	v_cvt_f32_u32_e32 v3, s14
	s_sub_i32 s3, 0, s14
	v_mov_b32_e32 v8, 0
	s_delay_alu instid0(VALU_DEP_2) | instskip(SKIP_2) | instid1(VALU_DEP_1)
	v_rcp_iflag_f32_e32 v3, v3
	s_waitcnt_depctr 0xfff
	v_mul_f32_e32 v3, 0x4f7ffffe, v3
	v_cvt_u32_f32_e32 v3, v3
	s_delay_alu instid0(VALU_DEP_1) | instskip(NEXT) | instid1(VALU_DEP_1)
	v_mul_lo_u32 v4, s3, v3
	v_mul_hi_u32 v4, v3, v4
	s_delay_alu instid0(VALU_DEP_1) | instskip(NEXT) | instid1(VALU_DEP_1)
	v_add_nc_u32_e32 v3, v3, v4
	v_mul_hi_u32 v3, v1, v3
	s_delay_alu instid0(VALU_DEP_1) | instskip(NEXT) | instid1(VALU_DEP_1)
	v_mul_lo_u32 v3, v3, s14
	v_sub_nc_u32_e32 v3, v1, v3
	s_delay_alu instid0(VALU_DEP_1) | instskip(SKIP_1) | instid1(VALU_DEP_2)
	v_subrev_nc_u32_e32 v4, s14, v3
	v_cmp_le_u32_e32 vcc_lo, s14, v3
	v_cndmask_b32_e32 v3, v3, v4, vcc_lo
	s_delay_alu instid0(VALU_DEP_1) | instskip(SKIP_1) | instid1(VALU_DEP_2)
	v_subrev_nc_u32_e32 v4, s14, v3
	v_cmp_le_u32_e32 vcc_lo, s14, v3
	v_cndmask_b32_e32 v7, v3, v4, vcc_lo
.LBB66_10:
	s_or_b32 exec_lo, exec_lo, s2
	v_lshlrev_b64 v[3:4], 3, v[1:2]
	s_delay_alu instid0(VALU_DEP_1) | instskip(NEXT) | instid1(VALU_DEP_2)
	v_add_co_u32 v3, vcc_lo, s10, v3
	v_add_co_ci_u32_e32 v4, vcc_lo, s11, v4, vcc_lo
	global_load_b64 v[3:4], v[3:4], off
	s_waitcnt vmcnt(0)
	v_sub_co_u32 v5, vcc_lo, v3, s12
	v_subrev_co_ci_u32_e32 v6, vcc_lo, 0, v4, vcc_lo
	s_delay_alu instid0(VALU_DEP_1)
	v_cmp_lt_i64_e32 vcc_lo, -1, v[5:6]
	s_and_b32 exec_lo, exec_lo, vcc_lo
	s_cbranch_execz .LBB66_35
; %bb.11:
	s_clause 0x1
	s_load_b128 s[12:15], s[0:1], 0x0
	s_load_b64 s[10:11], s[0:1], 0x40
	s_waitcnt lgkmcnt(0)
	s_cmp_eq_u32 s14, 1
	s_cselect_b32 s7, -1, 0
	s_cmpk_eq_i32 s12, 0x6f
	s_cselect_b32 s17, -1, 0
	s_cmpk_lg_i32 s12, 0x6f
	s_cselect_b32 s2, -1, 0
	s_cmp_lg_u32 s14, 1
	s_cbranch_scc0 .LBB66_15
; %bb.12:
	v_dual_mov_b32 v3, v7 :: v_dual_mov_b32 v4, v8
	s_and_not1_b32 vcc_lo, exec_lo, s17
	s_cbranch_vccnz .LBB66_14
; %bb.13:
	v_mul_lo_u32 v9, v8, s10
	v_mul_lo_u32 v10, v7, s11
	v_mad_u64_u32 v[3:4], null, v7, s10, 0
	s_delay_alu instid0(VALU_DEP_1)
	v_add3_u32 v4, v4, v10, v9
.LBB66_14:
	s_cbranch_execz .LBB66_16
	s_branch .LBB66_19
.LBB66_15:
                                        ; implicit-def: $vgpr3_vgpr4
.LBB66_16:
	s_and_not1_b32 vcc_lo, exec_lo, s2
	s_cbranch_vccnz .LBB66_18
; %bb.17:
	v_mul_lo_u32 v8, v8, s10
	v_mul_lo_u32 v9, v7, s11
	v_mad_u64_u32 v[3:4], null, v7, s10, 0
	s_delay_alu instid0(VALU_DEP_1) | instskip(NEXT) | instid1(VALU_DEP_1)
	v_add3_u32 v4, v4, v9, v8
	v_dual_mov_b32 v8, v4 :: v_dual_mov_b32 v7, v3
.LBB66_18:
	s_delay_alu instid0(VALU_DEP_1)
	v_dual_mov_b32 v3, v7 :: v_dual_mov_b32 v4, v8
.LBB66_19:
	s_cmp_eq_u32 s15, 1
	s_cselect_b32 s14, -1, 0
	s_cmpk_eq_i32 s13, 0x6f
	s_cselect_b32 s18, -1, 0
	s_cmpk_lg_i32 s13, 0x6f
	s_cselect_b32 s2, -1, 0
	s_cmp_lg_u32 s15, 1
	s_cbranch_scc0 .LBB66_23
; %bb.20:
	v_dual_mov_b32 v8, v6 :: v_dual_mov_b32 v7, v5
	s_and_not1_b32 vcc_lo, exec_lo, s2
	s_cbranch_vccnz .LBB66_22
; %bb.21:
	v_mul_lo_u32 v9, v6, s4
	v_mul_lo_u32 v10, v5, s5
	v_mad_u64_u32 v[7:8], null, v5, s4, 0
	s_delay_alu instid0(VALU_DEP_1)
	v_add3_u32 v8, v8, v10, v9
.LBB66_22:
	s_cbranch_execz .LBB66_24
	s_branch .LBB66_27
.LBB66_23:
                                        ; implicit-def: $vgpr7_vgpr8
.LBB66_24:
	s_and_not1_b32 vcc_lo, exec_lo, s18
	s_cbranch_vccnz .LBB66_26
; %bb.25:
	v_mul_lo_u32 v8, v6, s4
	v_mul_lo_u32 v9, v5, s5
	v_mad_u64_u32 v[6:7], null, v5, s4, 0
	s_delay_alu instid0(VALU_DEP_1) | instskip(NEXT) | instid1(VALU_DEP_2)
	v_add3_u32 v7, v7, v9, v8
	v_mov_b32_e32 v5, v6
	s_delay_alu instid0(VALU_DEP_2)
	v_mov_b32_e32 v6, v7
.LBB66_26:
	s_delay_alu instid0(VALU_DEP_1)
	v_dual_mov_b32 v8, v6 :: v_dual_mov_b32 v7, v5
.LBB66_27:
	s_load_b64 s[2:3], s[0:1], 0x60
	v_dual_mov_b32 v6, 0 :: v_dual_and_b32 v5, 1, v0
	s_mov_b32 s12, exec_lo
	s_delay_alu instid0(VALU_DEP_1)
	v_cmpx_gt_i64_e64 s[8:9], v[5:6]
	s_cbranch_execz .LBB66_31
; %bb.28:
	s_xor_b32 s7, s17, s7
	v_lshlrev_b64 v[7:8], 1, v[7:8]
	s_and_b32 s7, s7, exec_lo
	s_cselect_b32 s11, 0, s11
	s_cselect_b32 s10, 1, s10
	s_xor_b32 s7, s18, s14
	s_load_b64 s[14:15], s[0:1], 0x48
	s_and_b32 s7, s7, exec_lo
	s_cselect_b32 s5, s5, 0
	s_cselect_b32 s4, s4, 1
	v_mul_lo_u32 v10, s5, v5
	v_mul_lo_u32 v9, s4, v5
	s_load_b64 s[0:1], s[0:1], 0x38
	v_mul_lo_u32 v13, s11, v5
	v_mul_lo_u32 v12, s10, v5
	v_lshlrev_b64 v[14:15], 1, v[3:4]
	s_lshl_b64 s[4:5], s[4:5], 2
	s_lshl_b64 s[10:11], s[10:11], 2
	s_delay_alu instid0(VALU_DEP_4) | instskip(NEXT) | instid1(VALU_DEP_1)
	v_lshlrev_b64 v[9:10], 1, v[9:10]
	v_add_co_u32 v0, vcc_lo, v9, v7
	s_delay_alu instid0(VALU_DEP_2) | instskip(SKIP_2) | instid1(VALU_DEP_3)
	v_add_co_ci_u32_e32 v4, vcc_lo, v10, v8, vcc_lo
	v_lshlrev_b64 v[7:8], 1, v[12:13]
	s_waitcnt lgkmcnt(0)
	v_add_co_u32 v3, vcc_lo, s14, v0
	s_delay_alu instid0(VALU_DEP_3) | instskip(SKIP_1) | instid1(VALU_DEP_4)
	v_add_co_ci_u32_e32 v4, vcc_lo, s15, v4, vcc_lo
	v_mov_b32_e32 v12, 0
	v_add_co_u32 v0, vcc_lo, v7, v14
	v_add_co_ci_u32_e32 v8, vcc_lo, v8, v15, vcc_lo
	v_dual_mov_b32 v10, v6 :: v_dual_mov_b32 v9, v5
	s_delay_alu instid0(VALU_DEP_3) | instskip(NEXT) | instid1(VALU_DEP_3)
	v_add_co_u32 v7, vcc_lo, s0, v0
	v_add_co_ci_u32_e32 v8, vcc_lo, s1, v8, vcc_lo
	v_mov_b32_e32 v6, v12
	s_mov_b32 s1, 0
	.p2align	6
.LBB66_29:                              ; =>This Inner Loop Header: Depth=1
	global_load_u16 v0, v[7:8], off
	global_load_u16 v12, v[3:4], off
	v_add_co_u32 v9, vcc_lo, v9, 2
	v_add_co_ci_u32_e32 v10, vcc_lo, 0, v10, vcc_lo
	v_add_co_u32 v3, vcc_lo, v3, s4
	v_add_co_ci_u32_e32 v4, vcc_lo, s5, v4, vcc_lo
	s_delay_alu instid0(VALU_DEP_3) | instskip(SKIP_1) | instid1(VALU_DEP_1)
	v_cmp_le_i64_e32 vcc_lo, s[8:9], v[9:10]
	v_add_co_u32 v7, s0, v7, s10
	v_add_co_ci_u32_e64 v8, s0, s11, v8, s0
	s_or_b32 s1, vcc_lo, s1
	s_waitcnt vmcnt(0)
	v_mul_f16_e32 v0, v0, v12
	s_delay_alu instid0(VALU_DEP_1) | instskip(NEXT) | instid1(VALU_DEP_1)
	v_cvt_f32_f16_e32 v0, v0
	v_add_f32_e32 v6, v6, v0
	s_and_not1_b32 exec_lo, exec_lo, s1
	s_cbranch_execnz .LBB66_29
; %bb.30:
	s_or_b32 exec_lo, exec_lo, s1
.LBB66_31:
	s_delay_alu instid0(SALU_CYCLE_1) | instskip(SKIP_2) | instid1(VALU_DEP_2)
	s_or_b32 exec_lo, exec_lo, s12
	v_lshlrev_b32_e32 v0, 3, v11
	v_cmp_eq_u32_e32 vcc_lo, 0, v5
	v_lshl_or_b32 v3, v5, 2, v0
	ds_store_b32 v3, v6
	s_waitcnt lgkmcnt(0)
	s_barrier
	buffer_gl0_inv
	s_and_saveexec_b32 s0, vcc_lo
	s_cbranch_execz .LBB66_33
; %bb.32:
	ds_load_b32 v4, v0 offset:4
	ds_load_b32 v5, v3
	s_waitcnt lgkmcnt(0)
	v_add_f32_e32 v4, v4, v5
	ds_store_b32 v3, v4
.LBB66_33:
	s_or_b32 exec_lo, exec_lo, s0
	s_waitcnt lgkmcnt(0)
	s_barrier
	buffer_gl0_inv
	s_and_b32 exec_lo, exec_lo, vcc_lo
	s_cbranch_execz .LBB66_35
; %bb.34:
	v_lshlrev_b64 v[1:2], 2, v[1:2]
	ds_load_b32 v0, v0
	v_add_co_u32 v1, vcc_lo, s2, v1
	v_add_co_ci_u32_e32 v2, vcc_lo, s3, v2, vcc_lo
	global_load_b32 v3, v[1:2], off
	s_waitcnt lgkmcnt(0)
	v_mul_f32_e32 v0, s16, v0
	s_waitcnt vmcnt(0)
	s_delay_alu instid0(VALU_DEP_1)
	v_fmac_f32_e32 v0, s6, v3
	global_store_b32 v[1:2], v0, off
.LBB66_35:
	s_nop 0
	s_sendmsg sendmsg(MSG_DEALLOC_VGPRS)
	s_endpgm
	.section	.rodata,"a",@progbits
	.p2align	6, 0x0
	.amdhsa_kernel _ZN9rocsparseL16sddmm_ell_kernelILi512ELi2EfllDF16_DF16_fEEv20rocsparse_operation_S1_16rocsparse_order_S2_T3_S3_S3_T2_NS_24const_host_device_scalarIT1_EEPKT4_lPKT5_lS7_PT6_PKS3_21rocsparse_index_base_b
		.amdhsa_group_segment_fixed_size 2048
		.amdhsa_private_segment_fixed_size 0
		.amdhsa_kernarg_size 120
		.amdhsa_user_sgpr_count 15
		.amdhsa_user_sgpr_dispatch_ptr 0
		.amdhsa_user_sgpr_queue_ptr 0
		.amdhsa_user_sgpr_kernarg_segment_ptr 1
		.amdhsa_user_sgpr_dispatch_id 0
		.amdhsa_user_sgpr_private_segment_size 0
		.amdhsa_wavefront_size32 1
		.amdhsa_uses_dynamic_stack 0
		.amdhsa_enable_private_segment 0
		.amdhsa_system_sgpr_workgroup_id_x 1
		.amdhsa_system_sgpr_workgroup_id_y 0
		.amdhsa_system_sgpr_workgroup_id_z 0
		.amdhsa_system_sgpr_workgroup_info 0
		.amdhsa_system_vgpr_workitem_id 0
		.amdhsa_next_free_vgpr 16
		.amdhsa_next_free_sgpr 22
		.amdhsa_reserve_vcc 1
		.amdhsa_float_round_mode_32 0
		.amdhsa_float_round_mode_16_64 0
		.amdhsa_float_denorm_mode_32 3
		.amdhsa_float_denorm_mode_16_64 3
		.amdhsa_dx10_clamp 1
		.amdhsa_ieee_mode 1
		.amdhsa_fp16_overflow 0
		.amdhsa_workgroup_processor_mode 1
		.amdhsa_memory_ordered 1
		.amdhsa_forward_progress 0
		.amdhsa_shared_vgpr_count 0
		.amdhsa_exception_fp_ieee_invalid_op 0
		.amdhsa_exception_fp_denorm_src 0
		.amdhsa_exception_fp_ieee_div_zero 0
		.amdhsa_exception_fp_ieee_overflow 0
		.amdhsa_exception_fp_ieee_underflow 0
		.amdhsa_exception_fp_ieee_inexact 0
		.amdhsa_exception_int_div_zero 0
	.end_amdhsa_kernel
	.section	.text._ZN9rocsparseL16sddmm_ell_kernelILi512ELi2EfllDF16_DF16_fEEv20rocsparse_operation_S1_16rocsparse_order_S2_T3_S3_S3_T2_NS_24const_host_device_scalarIT1_EEPKT4_lPKT5_lS7_PT6_PKS3_21rocsparse_index_base_b,"axG",@progbits,_ZN9rocsparseL16sddmm_ell_kernelILi512ELi2EfllDF16_DF16_fEEv20rocsparse_operation_S1_16rocsparse_order_S2_T3_S3_S3_T2_NS_24const_host_device_scalarIT1_EEPKT4_lPKT5_lS7_PT6_PKS3_21rocsparse_index_base_b,comdat
.Lfunc_end66:
	.size	_ZN9rocsparseL16sddmm_ell_kernelILi512ELi2EfllDF16_DF16_fEEv20rocsparse_operation_S1_16rocsparse_order_S2_T3_S3_S3_T2_NS_24const_host_device_scalarIT1_EEPKT4_lPKT5_lS7_PT6_PKS3_21rocsparse_index_base_b, .Lfunc_end66-_ZN9rocsparseL16sddmm_ell_kernelILi512ELi2EfllDF16_DF16_fEEv20rocsparse_operation_S1_16rocsparse_order_S2_T3_S3_S3_T2_NS_24const_host_device_scalarIT1_EEPKT4_lPKT5_lS7_PT6_PKS3_21rocsparse_index_base_b
                                        ; -- End function
	.section	.AMDGPU.csdata,"",@progbits
; Kernel info:
; codeLenInByte = 2080
; NumSgprs: 24
; NumVgprs: 16
; ScratchSize: 0
; MemoryBound: 0
; FloatMode: 240
; IeeeMode: 1
; LDSByteSize: 2048 bytes/workgroup (compile time only)
; SGPRBlocks: 2
; VGPRBlocks: 1
; NumSGPRsForWavesPerEU: 24
; NumVGPRsForWavesPerEU: 16
; Occupancy: 16
; WaveLimiterHint : 0
; COMPUTE_PGM_RSRC2:SCRATCH_EN: 0
; COMPUTE_PGM_RSRC2:USER_SGPR: 15
; COMPUTE_PGM_RSRC2:TRAP_HANDLER: 0
; COMPUTE_PGM_RSRC2:TGID_X_EN: 1
; COMPUTE_PGM_RSRC2:TGID_Y_EN: 0
; COMPUTE_PGM_RSRC2:TGID_Z_EN: 0
; COMPUTE_PGM_RSRC2:TIDIG_COMP_CNT: 0
	.section	.text._ZN9rocsparseL16sddmm_ell_kernelILi512ELi1EfllDF16_DF16_fEEv20rocsparse_operation_S1_16rocsparse_order_S2_T3_S3_S3_T2_NS_24const_host_device_scalarIT1_EEPKT4_lPKT5_lS7_PT6_PKS3_21rocsparse_index_base_b,"axG",@progbits,_ZN9rocsparseL16sddmm_ell_kernelILi512ELi1EfllDF16_DF16_fEEv20rocsparse_operation_S1_16rocsparse_order_S2_T3_S3_S3_T2_NS_24const_host_device_scalarIT1_EEPKT4_lPKT5_lS7_PT6_PKS3_21rocsparse_index_base_b,comdat
	.globl	_ZN9rocsparseL16sddmm_ell_kernelILi512ELi1EfllDF16_DF16_fEEv20rocsparse_operation_S1_16rocsparse_order_S2_T3_S3_S3_T2_NS_24const_host_device_scalarIT1_EEPKT4_lPKT5_lS7_PT6_PKS3_21rocsparse_index_base_b ; -- Begin function _ZN9rocsparseL16sddmm_ell_kernelILi512ELi1EfllDF16_DF16_fEEv20rocsparse_operation_S1_16rocsparse_order_S2_T3_S3_S3_T2_NS_24const_host_device_scalarIT1_EEPKT4_lPKT5_lS7_PT6_PKS3_21rocsparse_index_base_b
	.p2align	8
	.type	_ZN9rocsparseL16sddmm_ell_kernelILi512ELi1EfllDF16_DF16_fEEv20rocsparse_operation_S1_16rocsparse_order_S2_T3_S3_S3_T2_NS_24const_host_device_scalarIT1_EEPKT4_lPKT5_lS7_PT6_PKS3_21rocsparse_index_base_b,@function
_ZN9rocsparseL16sddmm_ell_kernelILi512ELi1EfllDF16_DF16_fEEv20rocsparse_operation_S1_16rocsparse_order_S2_T3_S3_S3_T2_NS_24const_host_device_scalarIT1_EEPKT4_lPKT5_lS7_PT6_PKS3_21rocsparse_index_base_b: ; @_ZN9rocsparseL16sddmm_ell_kernelILi512ELi1EfllDF16_DF16_fEEv20rocsparse_operation_S1_16rocsparse_order_S2_T3_S3_S3_T2_NS_24const_host_device_scalarIT1_EEPKT4_lPKT5_lS7_PT6_PKS3_21rocsparse_index_base_b
; %bb.0:
	s_clause 0x2
	s_load_b64 s[12:13], s[0:1], 0x70
	s_load_b64 s[16:17], s[0:1], 0x30
	s_load_b128 s[4:7], s[0:1], 0x50
	s_waitcnt lgkmcnt(0)
	s_bitcmp1_b32 s13, 0
	s_cselect_b32 s2, -1, 0
	s_delay_alu instid0(SALU_CYCLE_1)
	s_and_b32 vcc_lo, exec_lo, s2
	s_xor_b32 s2, s2, -1
	s_cbranch_vccnz .LBB67_2
; %bb.1:
	s_load_b32 s16, s[16:17], 0x0
.LBB67_2:
	s_and_not1_b32 vcc_lo, exec_lo, s2
	s_cbranch_vccnz .LBB67_4
; %bb.3:
	s_load_b32 s6, s[6:7], 0x0
.LBB67_4:
	s_waitcnt lgkmcnt(0)
	v_cmp_eq_f32_e64 s2, s16, 0
	v_cmp_eq_f32_e64 s3, s6, 1.0
	s_delay_alu instid0(VALU_DEP_1) | instskip(NEXT) | instid1(SALU_CYCLE_1)
	s_and_b32 s2, s2, s3
	s_and_b32 vcc_lo, exec_lo, s2
	s_cbranch_vccnz .LBB67_32
; %bb.5:
	s_load_b128 s[8:11], s[0:1], 0x20
	v_lshl_or_b32 v1, s15, 9, v0
	v_mov_b32_e32 v2, 0
	s_mov_b32 s2, exec_lo
	s_waitcnt lgkmcnt(0)
	s_delay_alu instid0(VALU_DEP_1)
	v_cmpx_gt_i64_e64 s[10:11], v[1:2]
	s_cbranch_execz .LBB67_32
; %bb.6:
	s_clause 0x1
	s_load_b64 s[14:15], s[0:1], 0x10
	s_load_b64 s[10:11], s[0:1], 0x68
	s_mov_b32 s2, 0
                                        ; implicit-def: $vgpr7_vgpr8
	s_waitcnt lgkmcnt(0)
	s_mov_b32 s3, s15
	s_delay_alu instid0(SALU_CYCLE_1) | instskip(SKIP_1) | instid1(SALU_CYCLE_1)
	s_cmp_lg_u64 s[2:3], 0
	s_cselect_b32 s2, -1, 0
	s_and_saveexec_b32 s3, s2
	s_delay_alu instid0(SALU_CYCLE_1)
	s_xor_b32 s3, exec_lo, s3
	s_cbranch_execz .LBB67_8
; %bb.7:
	s_ashr_i32 s18, s15, 31
	s_delay_alu instid0(SALU_CYCLE_1) | instskip(SKIP_2) | instid1(SALU_CYCLE_1)
	s_add_u32 s20, s14, s18
	s_mov_b32 s19, s18
	s_addc_u32 s21, s15, s18
	s_xor_b64 s[18:19], s[20:21], s[18:19]
	s_delay_alu instid0(SALU_CYCLE_1) | instskip(SKIP_3) | instid1(VALU_DEP_1)
	v_cvt_f32_u32_e32 v3, s18
	v_cvt_f32_u32_e32 v4, s19
	s_sub_u32 s2, 0, s18
	s_subb_u32 s7, 0, s19
	v_fmamk_f32 v3, v4, 0x4f800000, v3
	s_delay_alu instid0(VALU_DEP_1) | instskip(SKIP_2) | instid1(VALU_DEP_1)
	v_rcp_f32_e32 v3, v3
	s_waitcnt_depctr 0xfff
	v_mul_f32_e32 v3, 0x5f7ffffc, v3
	v_mul_f32_e32 v4, 0x2f800000, v3
	s_delay_alu instid0(VALU_DEP_1) | instskip(NEXT) | instid1(VALU_DEP_1)
	v_trunc_f32_e32 v4, v4
	v_fmamk_f32 v3, v4, 0xcf800000, v3
	v_cvt_u32_f32_e32 v4, v4
	s_delay_alu instid0(VALU_DEP_2) | instskip(NEXT) | instid1(VALU_DEP_2)
	v_cvt_u32_f32_e32 v3, v3
	v_mul_lo_u32 v5, s2, v4
	s_delay_alu instid0(VALU_DEP_2) | instskip(SKIP_1) | instid1(VALU_DEP_2)
	v_mul_hi_u32 v6, s2, v3
	v_mul_lo_u32 v7, s7, v3
	v_add_nc_u32_e32 v5, v6, v5
	v_mul_lo_u32 v6, s2, v3
	s_delay_alu instid0(VALU_DEP_2) | instskip(NEXT) | instid1(VALU_DEP_2)
	v_add_nc_u32_e32 v5, v5, v7
	v_mul_hi_u32 v7, v3, v6
	s_delay_alu instid0(VALU_DEP_2)
	v_mul_lo_u32 v8, v3, v5
	v_mul_hi_u32 v9, v3, v5
	v_mul_hi_u32 v10, v4, v6
	v_mul_lo_u32 v6, v4, v6
	v_mul_hi_u32 v11, v4, v5
	v_mul_lo_u32 v5, v4, v5
	v_add_co_u32 v7, vcc_lo, v7, v8
	v_add_co_ci_u32_e32 v8, vcc_lo, 0, v9, vcc_lo
	s_delay_alu instid0(VALU_DEP_2) | instskip(NEXT) | instid1(VALU_DEP_2)
	v_add_co_u32 v6, vcc_lo, v7, v6
	v_add_co_ci_u32_e32 v6, vcc_lo, v8, v10, vcc_lo
	v_add_co_ci_u32_e32 v7, vcc_lo, 0, v11, vcc_lo
	s_delay_alu instid0(VALU_DEP_2) | instskip(NEXT) | instid1(VALU_DEP_2)
	v_add_co_u32 v5, vcc_lo, v6, v5
	v_add_co_ci_u32_e32 v6, vcc_lo, 0, v7, vcc_lo
	s_delay_alu instid0(VALU_DEP_2) | instskip(NEXT) | instid1(VALU_DEP_2)
	v_add_co_u32 v3, vcc_lo, v3, v5
	v_add_co_ci_u32_e32 v4, vcc_lo, v4, v6, vcc_lo
	s_delay_alu instid0(VALU_DEP_2) | instskip(SKIP_1) | instid1(VALU_DEP_3)
	v_mul_hi_u32 v5, s2, v3
	v_mul_lo_u32 v7, s7, v3
	v_mul_lo_u32 v6, s2, v4
	s_delay_alu instid0(VALU_DEP_1) | instskip(SKIP_1) | instid1(VALU_DEP_2)
	v_add_nc_u32_e32 v5, v5, v6
	v_mul_lo_u32 v6, s2, v3
	v_add_nc_u32_e32 v5, v5, v7
	s_delay_alu instid0(VALU_DEP_2) | instskip(NEXT) | instid1(VALU_DEP_2)
	v_mul_hi_u32 v7, v3, v6
	v_mul_lo_u32 v8, v3, v5
	v_mul_hi_u32 v9, v3, v5
	v_mul_hi_u32 v10, v4, v6
	v_mul_lo_u32 v6, v4, v6
	v_mul_hi_u32 v11, v4, v5
	v_mul_lo_u32 v5, v4, v5
	v_add_co_u32 v7, vcc_lo, v7, v8
	v_add_co_ci_u32_e32 v8, vcc_lo, 0, v9, vcc_lo
	s_delay_alu instid0(VALU_DEP_2) | instskip(NEXT) | instid1(VALU_DEP_2)
	v_add_co_u32 v6, vcc_lo, v7, v6
	v_add_co_ci_u32_e32 v6, vcc_lo, v8, v10, vcc_lo
	v_add_co_ci_u32_e32 v7, vcc_lo, 0, v11, vcc_lo
	s_delay_alu instid0(VALU_DEP_2) | instskip(NEXT) | instid1(VALU_DEP_2)
	v_add_co_u32 v5, vcc_lo, v6, v5
	v_add_co_ci_u32_e32 v6, vcc_lo, 0, v7, vcc_lo
	s_delay_alu instid0(VALU_DEP_2) | instskip(NEXT) | instid1(VALU_DEP_2)
	v_add_co_u32 v7, vcc_lo, v3, v5
	v_add_co_ci_u32_e32 v9, vcc_lo, v4, v6, vcc_lo
	s_delay_alu instid0(VALU_DEP_2) | instskip(SKIP_1) | instid1(VALU_DEP_3)
	v_mul_hi_u32 v10, v1, v7
	v_mad_u64_u32 v[5:6], null, 0, v7, 0
	v_mad_u64_u32 v[3:4], null, v1, v9, 0
	;; [unrolled: 1-line block ×3, first 2 shown]
	s_delay_alu instid0(VALU_DEP_2) | instskip(NEXT) | instid1(VALU_DEP_3)
	v_add_co_u32 v3, vcc_lo, v10, v3
	v_add_co_ci_u32_e32 v4, vcc_lo, 0, v4, vcc_lo
	s_delay_alu instid0(VALU_DEP_2) | instskip(NEXT) | instid1(VALU_DEP_2)
	v_add_co_u32 v3, vcc_lo, v3, v5
	v_add_co_ci_u32_e32 v3, vcc_lo, v4, v6, vcc_lo
	v_add_co_ci_u32_e32 v4, vcc_lo, 0, v8, vcc_lo
	s_delay_alu instid0(VALU_DEP_2) | instskip(NEXT) | instid1(VALU_DEP_2)
	v_add_co_u32 v5, vcc_lo, v3, v7
	v_add_co_ci_u32_e32 v6, vcc_lo, 0, v4, vcc_lo
	s_delay_alu instid0(VALU_DEP_2) | instskip(SKIP_1) | instid1(VALU_DEP_3)
	v_mul_lo_u32 v7, s19, v5
	v_mad_u64_u32 v[3:4], null, s18, v5, 0
	v_mul_lo_u32 v5, s18, v6
	s_delay_alu instid0(VALU_DEP_2) | instskip(NEXT) | instid1(VALU_DEP_2)
	v_sub_co_u32 v3, vcc_lo, v1, v3
	v_add3_u32 v4, v4, v5, v7
	s_delay_alu instid0(VALU_DEP_1) | instskip(NEXT) | instid1(VALU_DEP_1)
	v_sub_nc_u32_e32 v5, 0, v4
	v_subrev_co_ci_u32_e64 v5, s2, s19, v5, vcc_lo
	v_sub_co_ci_u32_e32 v4, vcc_lo, 0, v4, vcc_lo
	v_sub_co_u32 v6, vcc_lo, v3, s18
	s_delay_alu instid0(VALU_DEP_1) | instskip(SKIP_3) | instid1(VALU_DEP_3)
	v_subrev_co_ci_u32_e64 v7, s2, 0, v5, vcc_lo
	v_cmp_le_u32_e64 s2, s18, v3
	v_subrev_co_ci_u32_e32 v5, vcc_lo, s19, v5, vcc_lo
	v_cmp_le_u32_e32 vcc_lo, s19, v4
	v_cndmask_b32_e64 v8, 0, -1, s2
	v_cmp_le_u32_e64 s2, s18, v6
	v_cndmask_b32_e64 v11, 0, -1, vcc_lo
	v_cmp_eq_u32_e32 vcc_lo, s19, v7
	s_delay_alu instid0(VALU_DEP_3) | instskip(SKIP_1) | instid1(VALU_DEP_1)
	v_cndmask_b32_e64 v9, 0, -1, s2
	v_cmp_le_u32_e64 s2, s19, v7
	v_cndmask_b32_e64 v10, 0, -1, s2
	v_cmp_eq_u32_e64 s2, s19, v4
	s_delay_alu instid0(VALU_DEP_2) | instskip(SKIP_2) | instid1(VALU_DEP_3)
	v_cndmask_b32_e32 v9, v10, v9, vcc_lo
	v_sub_co_u32 v10, vcc_lo, v6, s18
	v_subrev_co_ci_u32_e32 v5, vcc_lo, 0, v5, vcc_lo
	v_cmp_ne_u32_e32 vcc_lo, 0, v9
	v_cndmask_b32_e64 v8, v11, v8, s2
	s_delay_alu instid0(VALU_DEP_3) | instskip(NEXT) | instid1(VALU_DEP_2)
	v_dual_cndmask_b32 v5, v7, v5 :: v_dual_cndmask_b32 v6, v6, v10
	v_cmp_ne_u32_e32 vcc_lo, 0, v8
	s_delay_alu instid0(VALU_DEP_2) | instskip(NEXT) | instid1(VALU_DEP_1)
	v_dual_cndmask_b32 v3, v3, v6 :: v_dual_cndmask_b32 v4, v4, v5
	v_sub_co_u32 v7, vcc_lo, v3, 0
	s_delay_alu instid0(VALU_DEP_2)
	v_subrev_co_ci_u32_e32 v8, vcc_lo, 0, v4, vcc_lo
.LBB67_8:
	s_and_not1_saveexec_b32 s2, s3
	s_cbranch_execz .LBB67_10
; %bb.9:
	v_cvt_f32_u32_e32 v3, s14
	s_sub_i32 s3, 0, s14
	v_mov_b32_e32 v8, 0
	s_delay_alu instid0(VALU_DEP_2) | instskip(SKIP_2) | instid1(VALU_DEP_1)
	v_rcp_iflag_f32_e32 v3, v3
	s_waitcnt_depctr 0xfff
	v_mul_f32_e32 v3, 0x4f7ffffe, v3
	v_cvt_u32_f32_e32 v3, v3
	s_delay_alu instid0(VALU_DEP_1) | instskip(NEXT) | instid1(VALU_DEP_1)
	v_mul_lo_u32 v4, s3, v3
	v_mul_hi_u32 v4, v3, v4
	s_delay_alu instid0(VALU_DEP_1) | instskip(NEXT) | instid1(VALU_DEP_1)
	v_add_nc_u32_e32 v3, v3, v4
	v_mul_hi_u32 v3, v1, v3
	s_delay_alu instid0(VALU_DEP_1) | instskip(NEXT) | instid1(VALU_DEP_1)
	v_mul_lo_u32 v3, v3, s14
	v_sub_nc_u32_e32 v3, v1, v3
	s_delay_alu instid0(VALU_DEP_1) | instskip(SKIP_1) | instid1(VALU_DEP_2)
	v_subrev_nc_u32_e32 v4, s14, v3
	v_cmp_le_u32_e32 vcc_lo, s14, v3
	v_cndmask_b32_e32 v3, v3, v4, vcc_lo
	s_delay_alu instid0(VALU_DEP_1) | instskip(SKIP_1) | instid1(VALU_DEP_2)
	v_subrev_nc_u32_e32 v4, s14, v3
	v_cmp_le_u32_e32 vcc_lo, s14, v3
	v_cndmask_b32_e32 v7, v3, v4, vcc_lo
.LBB67_10:
	s_or_b32 exec_lo, exec_lo, s2
	v_lshlrev_b64 v[3:4], 3, v[1:2]
	s_delay_alu instid0(VALU_DEP_1) | instskip(NEXT) | instid1(VALU_DEP_2)
	v_add_co_u32 v3, vcc_lo, s10, v3
	v_add_co_ci_u32_e32 v4, vcc_lo, s11, v4, vcc_lo
	global_load_b64 v[3:4], v[3:4], off
	s_waitcnt vmcnt(0)
	v_sub_co_u32 v3, vcc_lo, v3, s12
	v_subrev_co_ci_u32_e32 v4, vcc_lo, 0, v4, vcc_lo
	s_delay_alu instid0(VALU_DEP_1)
	v_cmp_lt_i64_e32 vcc_lo, -1, v[3:4]
	s_and_b32 exec_lo, exec_lo, vcc_lo
	s_cbranch_execz .LBB67_32
; %bb.11:
	s_clause 0x1
	s_load_b128 s[12:15], s[0:1], 0x0
	s_load_b64 s[2:3], s[0:1], 0x40
	s_waitcnt lgkmcnt(0)
	s_cmp_eq_u32 s14, 1
	s_cselect_b32 s7, -1, 0
	s_cmpk_eq_i32 s12, 0x6f
	s_cselect_b32 s17, -1, 0
	s_cmpk_lg_i32 s12, 0x6f
	s_cselect_b32 s10, -1, 0
	s_cmp_lg_u32 s14, 1
	s_cbranch_scc0 .LBB67_15
; %bb.12:
	v_dual_mov_b32 v5, v7 :: v_dual_mov_b32 v6, v8
	s_and_not1_b32 vcc_lo, exec_lo, s17
	s_cbranch_vccnz .LBB67_14
; %bb.13:
	v_mul_lo_u32 v9, v8, s2
	v_mul_lo_u32 v10, v7, s3
	v_mad_u64_u32 v[5:6], null, v7, s2, 0
	s_delay_alu instid0(VALU_DEP_1)
	v_add3_u32 v6, v6, v10, v9
.LBB67_14:
	s_cbranch_execz .LBB67_16
	s_branch .LBB67_19
.LBB67_15:
                                        ; implicit-def: $vgpr5_vgpr6
.LBB67_16:
	s_and_not1_b32 vcc_lo, exec_lo, s10
	s_cbranch_vccnz .LBB67_18
; %bb.17:
	v_mul_lo_u32 v8, v8, s2
	v_mul_lo_u32 v9, v7, s3
	v_mad_u64_u32 v[5:6], null, v7, s2, 0
	s_delay_alu instid0(VALU_DEP_1) | instskip(NEXT) | instid1(VALU_DEP_1)
	v_add3_u32 v6, v6, v9, v8
	v_dual_mov_b32 v8, v6 :: v_dual_mov_b32 v7, v5
.LBB67_18:
	s_delay_alu instid0(VALU_DEP_1)
	v_dual_mov_b32 v5, v7 :: v_dual_mov_b32 v6, v8
.LBB67_19:
	s_cmp_eq_u32 s15, 1
	s_cselect_b32 s12, -1, 0
	s_cmpk_eq_i32 s13, 0x6f
	s_cselect_b32 s14, -1, 0
	s_cmpk_lg_i32 s13, 0x6f
	s_cselect_b32 s10, -1, 0
	s_cmp_lg_u32 s15, 1
	s_cbranch_scc0 .LBB67_23
; %bb.20:
	v_dual_mov_b32 v8, v4 :: v_dual_mov_b32 v7, v3
	s_and_not1_b32 vcc_lo, exec_lo, s10
	s_cbranch_vccnz .LBB67_22
; %bb.21:
	v_mul_lo_u32 v9, v4, s4
	v_mul_lo_u32 v10, v3, s5
	v_mad_u64_u32 v[7:8], null, v3, s4, 0
	s_delay_alu instid0(VALU_DEP_1)
	v_add3_u32 v8, v8, v10, v9
.LBB67_22:
	s_cbranch_execz .LBB67_24
	s_branch .LBB67_27
.LBB67_23:
                                        ; implicit-def: $vgpr7_vgpr8
.LBB67_24:
	s_and_not1_b32 vcc_lo, exec_lo, s14
	s_cbranch_vccnz .LBB67_26
; %bb.25:
	v_mul_lo_u32 v4, v4, s4
	v_mul_lo_u32 v9, v3, s5
	v_mad_u64_u32 v[7:8], null, v3, s4, 0
	s_delay_alu instid0(VALU_DEP_1) | instskip(NEXT) | instid1(VALU_DEP_1)
	v_add3_u32 v8, v8, v9, v4
	v_dual_mov_b32 v3, v7 :: v_dual_mov_b32 v4, v8
.LBB67_26:
	s_delay_alu instid0(VALU_DEP_1)
	v_dual_mov_b32 v8, v4 :: v_dual_mov_b32 v7, v3
.LBB67_27:
	s_load_b64 s[10:11], s[0:1], 0x60
	v_cmp_lt_i64_e64 s13, s[8:9], 1
	s_delay_alu instid0(VALU_DEP_1)
	s_and_b32 vcc_lo, exec_lo, s13
	s_cbranch_vccnz .LBB67_30
; %bb.28:
	s_clause 0x1
	s_load_b64 s[18:19], s[0:1], 0x48
	s_load_b64 s[0:1], s[0:1], 0x38
	v_lshlrev_b64 v[3:4], 1, v[7:8]
	v_lshlrev_b64 v[5:6], 1, v[5:6]
	s_xor_b32 s7, s17, s7
	v_mov_b32_e32 v7, 0
	s_and_b32 s7, s7, exec_lo
	s_cselect_b32 s3, 0, s3
	s_cselect_b32 s2, 1, s2
	s_xor_b32 s7, s14, s12
	s_delay_alu instid0(SALU_CYCLE_1)
	s_and_b32 s7, s7, exec_lo
	s_cselect_b32 s5, s5, 0
	s_cselect_b32 s4, s4, 1
	s_lshl_b64 s[2:3], s[2:3], 1
	s_waitcnt lgkmcnt(0)
	v_add_co_u32 v3, vcc_lo, s18, v3
	v_add_co_ci_u32_e32 v4, vcc_lo, s19, v4, vcc_lo
	v_add_co_u32 v5, vcc_lo, s0, v5
	v_add_co_ci_u32_e32 v6, vcc_lo, s1, v6, vcc_lo
	s_lshl_b64 s[0:1], s[4:5], 1
	.p2align	6
.LBB67_29:                              ; =>This Inner Loop Header: Depth=1
	global_load_u16 v8, v[5:6], off
	global_load_u16 v9, v[3:4], off
	v_add_co_u32 v3, vcc_lo, v3, s0
	v_add_co_ci_u32_e32 v4, vcc_lo, s1, v4, vcc_lo
	v_add_co_u32 v5, vcc_lo, v5, s2
	s_add_u32 s8, s8, -1
	v_add_co_ci_u32_e32 v6, vcc_lo, s3, v6, vcc_lo
	s_addc_u32 s9, s9, -1
	s_delay_alu instid0(SALU_CYCLE_1) | instskip(SKIP_2) | instid1(VALU_DEP_1)
	s_cmp_eq_u64 s[8:9], 0
	s_waitcnt vmcnt(0)
	v_mul_f16_e32 v8, v8, v9
	v_cvt_f32_f16_e32 v8, v8
	s_delay_alu instid0(VALU_DEP_1)
	v_add_f32_e32 v7, v7, v8
	s_cbranch_scc0 .LBB67_29
	s_branch .LBB67_31
.LBB67_30:
	v_mov_b32_e32 v7, 0
.LBB67_31:
	v_lshlrev_b64 v[1:2], 2, v[1:2]
	v_lshlrev_b32_e32 v3, 2, v0
	ds_store_b32 v3, v7
	s_waitcnt lgkmcnt(0)
	v_add_co_u32 v0, vcc_lo, s10, v1
	v_add_co_ci_u32_e32 v1, vcc_lo, s11, v2, vcc_lo
	s_barrier
	buffer_gl0_inv
	global_load_b32 v2, v[0:1], off
	ds_load_b32 v3, v3
	s_waitcnt lgkmcnt(0)
	v_mul_f32_e32 v3, s16, v3
	s_waitcnt vmcnt(0)
	s_delay_alu instid0(VALU_DEP_1)
	v_fmac_f32_e32 v3, s6, v2
	global_store_b32 v[0:1], v3, off
.LBB67_32:
	s_nop 0
	s_sendmsg sendmsg(MSG_DEALLOC_VGPRS)
	s_endpgm
	.section	.rodata,"a",@progbits
	.p2align	6, 0x0
	.amdhsa_kernel _ZN9rocsparseL16sddmm_ell_kernelILi512ELi1EfllDF16_DF16_fEEv20rocsparse_operation_S1_16rocsparse_order_S2_T3_S3_S3_T2_NS_24const_host_device_scalarIT1_EEPKT4_lPKT5_lS7_PT6_PKS3_21rocsparse_index_base_b
		.amdhsa_group_segment_fixed_size 2048
		.amdhsa_private_segment_fixed_size 0
		.amdhsa_kernarg_size 120
		.amdhsa_user_sgpr_count 15
		.amdhsa_user_sgpr_dispatch_ptr 0
		.amdhsa_user_sgpr_queue_ptr 0
		.amdhsa_user_sgpr_kernarg_segment_ptr 1
		.amdhsa_user_sgpr_dispatch_id 0
		.amdhsa_user_sgpr_private_segment_size 0
		.amdhsa_wavefront_size32 1
		.amdhsa_uses_dynamic_stack 0
		.amdhsa_enable_private_segment 0
		.amdhsa_system_sgpr_workgroup_id_x 1
		.amdhsa_system_sgpr_workgroup_id_y 0
		.amdhsa_system_sgpr_workgroup_id_z 0
		.amdhsa_system_sgpr_workgroup_info 0
		.amdhsa_system_vgpr_workitem_id 0
		.amdhsa_next_free_vgpr 12
		.amdhsa_next_free_sgpr 22
		.amdhsa_reserve_vcc 1
		.amdhsa_float_round_mode_32 0
		.amdhsa_float_round_mode_16_64 0
		.amdhsa_float_denorm_mode_32 3
		.amdhsa_float_denorm_mode_16_64 3
		.amdhsa_dx10_clamp 1
		.amdhsa_ieee_mode 1
		.amdhsa_fp16_overflow 0
		.amdhsa_workgroup_processor_mode 1
		.amdhsa_memory_ordered 1
		.amdhsa_forward_progress 0
		.amdhsa_shared_vgpr_count 0
		.amdhsa_exception_fp_ieee_invalid_op 0
		.amdhsa_exception_fp_denorm_src 0
		.amdhsa_exception_fp_ieee_div_zero 0
		.amdhsa_exception_fp_ieee_overflow 0
		.amdhsa_exception_fp_ieee_underflow 0
		.amdhsa_exception_fp_ieee_inexact 0
		.amdhsa_exception_int_div_zero 0
	.end_amdhsa_kernel
	.section	.text._ZN9rocsparseL16sddmm_ell_kernelILi512ELi1EfllDF16_DF16_fEEv20rocsparse_operation_S1_16rocsparse_order_S2_T3_S3_S3_T2_NS_24const_host_device_scalarIT1_EEPKT4_lPKT5_lS7_PT6_PKS3_21rocsparse_index_base_b,"axG",@progbits,_ZN9rocsparseL16sddmm_ell_kernelILi512ELi1EfllDF16_DF16_fEEv20rocsparse_operation_S1_16rocsparse_order_S2_T3_S3_S3_T2_NS_24const_host_device_scalarIT1_EEPKT4_lPKT5_lS7_PT6_PKS3_21rocsparse_index_base_b,comdat
.Lfunc_end67:
	.size	_ZN9rocsparseL16sddmm_ell_kernelILi512ELi1EfllDF16_DF16_fEEv20rocsparse_operation_S1_16rocsparse_order_S2_T3_S3_S3_T2_NS_24const_host_device_scalarIT1_EEPKT4_lPKT5_lS7_PT6_PKS3_21rocsparse_index_base_b, .Lfunc_end67-_ZN9rocsparseL16sddmm_ell_kernelILi512ELi1EfllDF16_DF16_fEEv20rocsparse_operation_S1_16rocsparse_order_S2_T3_S3_S3_T2_NS_24const_host_device_scalarIT1_EEPKT4_lPKT5_lS7_PT6_PKS3_21rocsparse_index_base_b
                                        ; -- End function
	.section	.AMDGPU.csdata,"",@progbits
; Kernel info:
; codeLenInByte = 1868
; NumSgprs: 24
; NumVgprs: 12
; ScratchSize: 0
; MemoryBound: 0
; FloatMode: 240
; IeeeMode: 1
; LDSByteSize: 2048 bytes/workgroup (compile time only)
; SGPRBlocks: 2
; VGPRBlocks: 1
; NumSGPRsForWavesPerEU: 24
; NumVGPRsForWavesPerEU: 12
; Occupancy: 16
; WaveLimiterHint : 0
; COMPUTE_PGM_RSRC2:SCRATCH_EN: 0
; COMPUTE_PGM_RSRC2:USER_SGPR: 15
; COMPUTE_PGM_RSRC2:TRAP_HANDLER: 0
; COMPUTE_PGM_RSRC2:TGID_X_EN: 1
; COMPUTE_PGM_RSRC2:TGID_Y_EN: 0
; COMPUTE_PGM_RSRC2:TGID_Z_EN: 0
; COMPUTE_PGM_RSRC2:TIDIG_COMP_CNT: 0
	.text
	.p2alignl 7, 3214868480
	.fill 96, 4, 3214868480
	.type	__hip_cuid_c96714899a40b143,@object ; @__hip_cuid_c96714899a40b143
	.section	.bss,"aw",@nobits
	.globl	__hip_cuid_c96714899a40b143
__hip_cuid_c96714899a40b143:
	.byte	0                               ; 0x0
	.size	__hip_cuid_c96714899a40b143, 1

	.ident	"AMD clang version 19.0.0git (https://github.com/RadeonOpenCompute/llvm-project roc-6.4.0 25133 c7fe45cf4b819c5991fe208aaa96edf142730f1d)"
	.section	".note.GNU-stack","",@progbits
	.addrsig
	.addrsig_sym __hip_cuid_c96714899a40b143
	.amdgpu_metadata
---
amdhsa.kernels:
  - .args:
      - .offset:         0
        .size:           4
        .value_kind:     by_value
      - .offset:         4
        .size:           4
        .value_kind:     by_value
      - .actual_access:  read_only
        .address_space:  global
        .offset:         8
        .size:           8
        .value_kind:     global_buffer
      - .offset:         16
        .size:           8
        .value_kind:     by_value
      - .offset:         24
        .size:           4
        .value_kind:     by_value
      - .actual_access:  write_only
        .address_space:  global
        .offset:         32
        .size:           8
        .value_kind:     global_buffer
      - .actual_access:  read_only
        .address_space:  global
        .offset:         40
        .size:           8
        .value_kind:     global_buffer
      - .offset:         48
        .size:           4
        .value_kind:     by_value
    .group_segment_fixed_size: 0
    .kernarg_segment_align: 8
    .kernarg_segment_size: 52
    .language:       OpenCL C
    .language_version:
      - 2
      - 0
    .max_flat_workgroup_size: 512
    .name:           _ZN9rocsparseL23sddmm_ell_sample_kernelILi16ELi32EDF16_iDF16_EEvT2_S1_PKT3_lS1_PS2_PKS1_21rocsparse_index_base_
    .private_segment_fixed_size: 0
    .sgpr_count:     18
    .sgpr_spill_count: 0
    .symbol:         _ZN9rocsparseL23sddmm_ell_sample_kernelILi16ELi32EDF16_iDF16_EEvT2_S1_PKT3_lS1_PS2_PKS1_21rocsparse_index_base_.kd
    .uniform_work_group_size: 1
    .uses_dynamic_stack: false
    .vgpr_count:     11
    .vgpr_spill_count: 0
    .wavefront_size: 32
    .workgroup_processor_mode: 1
  - .args:
      - .offset:         0
        .size:           4
        .value_kind:     by_value
      - .offset:         4
        .size:           4
        .value_kind:     by_value
      - .actual_access:  read_only
        .address_space:  global
        .offset:         8
        .size:           8
        .value_kind:     global_buffer
      - .offset:         16
        .size:           8
        .value_kind:     by_value
      - .offset:         24
        .size:           4
        .value_kind:     by_value
      - .actual_access:  write_only
        .address_space:  global
        .offset:         32
        .size:           8
        .value_kind:     global_buffer
      - .actual_access:  read_only
        .address_space:  global
        .offset:         40
        .size:           8
        .value_kind:     global_buffer
      - .offset:         48
        .size:           4
        .value_kind:     by_value
    .group_segment_fixed_size: 0
    .kernarg_segment_align: 8
    .kernarg_segment_size: 52
    .language:       OpenCL C
    .language_version:
      - 2
      - 0
    .max_flat_workgroup_size: 1024
    .name:           _ZN9rocsparseL23sddmm_ell_sample_kernelILi16ELi64EDF16_iDF16_EEvT2_S1_PKT3_lS1_PS2_PKS1_21rocsparse_index_base_
    .private_segment_fixed_size: 0
    .sgpr_count:     18
    .sgpr_spill_count: 0
    .symbol:         _ZN9rocsparseL23sddmm_ell_sample_kernelILi16ELi64EDF16_iDF16_EEvT2_S1_PKT3_lS1_PS2_PKS1_21rocsparse_index_base_.kd
    .uniform_work_group_size: 1
    .uses_dynamic_stack: false
    .vgpr_count:     11
    .vgpr_spill_count: 0
    .wavefront_size: 32
    .workgroup_processor_mode: 1
  - .args:
      - .offset:         0
        .size:           4
        .value_kind:     by_value
      - .offset:         4
        .size:           4
        .value_kind:     by_value
      - .offset:         8
        .size:           4
        .value_kind:     by_value
      - .offset:         12
        .size:           4
        .value_kind:     by_value
      - .offset:         16
        .size:           4
        .value_kind:     by_value
      - .offset:         20
        .size:           4
        .value_kind:     by_value
      - .offset:         24
        .size:           4
        .value_kind:     by_value
      - .offset:         28
        .size:           4
        .value_kind:     by_value
      - .offset:         32
        .size:           8
        .value_kind:     by_value
      - .actual_access:  read_only
        .address_space:  global
        .offset:         40
        .size:           8
        .value_kind:     global_buffer
      - .offset:         48
        .size:           8
        .value_kind:     by_value
      - .actual_access:  read_only
        .address_space:  global
        .offset:         56
        .size:           8
        .value_kind:     global_buffer
      - .offset:         64
        .size:           8
        .value_kind:     by_value
      - .offset:         72
        .size:           8
        .value_kind:     by_value
      - .address_space:  global
        .offset:         80
        .size:           8
        .value_kind:     global_buffer
      - .actual_access:  read_only
        .address_space:  global
        .offset:         88
        .size:           8
        .value_kind:     global_buffer
      - .offset:         96
        .size:           4
        .value_kind:     by_value
      - .offset:         100
        .size:           1
        .value_kind:     by_value
    .group_segment_fixed_size: 1024
    .kernarg_segment_align: 8
    .kernarg_segment_size: 104
    .language:       OpenCL C
    .language_version:
      - 2
      - 0
    .max_flat_workgroup_size: 512
    .name:           _ZN9rocsparseL16sddmm_ell_kernelILi512ELi8EDF16_iiDF16_DF16_DF16_EEv20rocsparse_operation_S1_16rocsparse_order_S2_T3_S3_S3_T2_NS_24const_host_device_scalarIT1_EEPKT4_lPKT5_lS7_PT6_PKS3_21rocsparse_index_base_b
    .private_segment_fixed_size: 0
    .sgpr_count:     18
    .sgpr_spill_count: 0
    .symbol:         _ZN9rocsparseL16sddmm_ell_kernelILi512ELi8EDF16_iiDF16_DF16_DF16_EEv20rocsparse_operation_S1_16rocsparse_order_S2_T3_S3_S3_T2_NS_24const_host_device_scalarIT1_EEPKT4_lPKT5_lS7_PT6_PKS3_21rocsparse_index_base_b.kd
    .uniform_work_group_size: 1
    .uses_dynamic_stack: false
    .vgpr_count:     18
    .vgpr_spill_count: 0
    .wavefront_size: 32
    .workgroup_processor_mode: 1
  - .args:
      - .offset:         0
        .size:           4
        .value_kind:     by_value
      - .offset:         4
        .size:           4
        .value_kind:     by_value
      - .offset:         8
        .size:           4
        .value_kind:     by_value
      - .offset:         12
        .size:           4
        .value_kind:     by_value
      - .offset:         16
        .size:           4
        .value_kind:     by_value
      - .offset:         20
        .size:           4
        .value_kind:     by_value
      - .offset:         24
        .size:           4
        .value_kind:     by_value
      - .offset:         28
        .size:           4
        .value_kind:     by_value
      - .offset:         32
        .size:           8
        .value_kind:     by_value
      - .actual_access:  read_only
        .address_space:  global
        .offset:         40
        .size:           8
        .value_kind:     global_buffer
      - .offset:         48
        .size:           8
        .value_kind:     by_value
      - .actual_access:  read_only
        .address_space:  global
        .offset:         56
        .size:           8
        .value_kind:     global_buffer
      - .offset:         64
        .size:           8
        .value_kind:     by_value
      - .offset:         72
        .size:           8
        .value_kind:     by_value
      - .address_space:  global
        .offset:         80
        .size:           8
        .value_kind:     global_buffer
      - .actual_access:  read_only
        .address_space:  global
        .offset:         88
        .size:           8
        .value_kind:     global_buffer
      - .offset:         96
        .size:           4
        .value_kind:     by_value
      - .offset:         100
        .size:           1
        .value_kind:     by_value
    .group_segment_fixed_size: 1024
    .kernarg_segment_align: 8
    .kernarg_segment_size: 104
    .language:       OpenCL C
    .language_version:
      - 2
      - 0
    .max_flat_workgroup_size: 512
    .name:           _ZN9rocsparseL16sddmm_ell_kernelILi512ELi4EDF16_iiDF16_DF16_DF16_EEv20rocsparse_operation_S1_16rocsparse_order_S2_T3_S3_S3_T2_NS_24const_host_device_scalarIT1_EEPKT4_lPKT5_lS7_PT6_PKS3_21rocsparse_index_base_b
    .private_segment_fixed_size: 0
    .sgpr_count:     18
    .sgpr_spill_count: 0
    .symbol:         _ZN9rocsparseL16sddmm_ell_kernelILi512ELi4EDF16_iiDF16_DF16_DF16_EEv20rocsparse_operation_S1_16rocsparse_order_S2_T3_S3_S3_T2_NS_24const_host_device_scalarIT1_EEPKT4_lPKT5_lS7_PT6_PKS3_21rocsparse_index_base_b.kd
    .uniform_work_group_size: 1
    .uses_dynamic_stack: false
    .vgpr_count:     18
    .vgpr_spill_count: 0
    .wavefront_size: 32
    .workgroup_processor_mode: 1
  - .args:
      - .offset:         0
        .size:           4
        .value_kind:     by_value
      - .offset:         4
        .size:           4
        .value_kind:     by_value
      - .offset:         8
        .size:           4
        .value_kind:     by_value
      - .offset:         12
        .size:           4
        .value_kind:     by_value
      - .offset:         16
        .size:           4
        .value_kind:     by_value
      - .offset:         20
        .size:           4
        .value_kind:     by_value
      - .offset:         24
        .size:           4
        .value_kind:     by_value
      - .offset:         28
        .size:           4
        .value_kind:     by_value
      - .offset:         32
        .size:           8
        .value_kind:     by_value
      - .actual_access:  read_only
        .address_space:  global
        .offset:         40
        .size:           8
        .value_kind:     global_buffer
      - .offset:         48
        .size:           8
        .value_kind:     by_value
      - .actual_access:  read_only
        .address_space:  global
        .offset:         56
        .size:           8
        .value_kind:     global_buffer
      - .offset:         64
        .size:           8
        .value_kind:     by_value
      - .offset:         72
        .size:           8
        .value_kind:     by_value
      - .address_space:  global
        .offset:         80
        .size:           8
        .value_kind:     global_buffer
      - .actual_access:  read_only
        .address_space:  global
        .offset:         88
        .size:           8
        .value_kind:     global_buffer
      - .offset:         96
        .size:           4
        .value_kind:     by_value
      - .offset:         100
        .size:           1
        .value_kind:     by_value
    .group_segment_fixed_size: 1024
    .kernarg_segment_align: 8
    .kernarg_segment_size: 104
    .language:       OpenCL C
    .language_version:
      - 2
      - 0
    .max_flat_workgroup_size: 512
    .name:           _ZN9rocsparseL16sddmm_ell_kernelILi512ELi2EDF16_iiDF16_DF16_DF16_EEv20rocsparse_operation_S1_16rocsparse_order_S2_T3_S3_S3_T2_NS_24const_host_device_scalarIT1_EEPKT4_lPKT5_lS7_PT6_PKS3_21rocsparse_index_base_b
    .private_segment_fixed_size: 0
    .sgpr_count:     18
    .sgpr_spill_count: 0
    .symbol:         _ZN9rocsparseL16sddmm_ell_kernelILi512ELi2EDF16_iiDF16_DF16_DF16_EEv20rocsparse_operation_S1_16rocsparse_order_S2_T3_S3_S3_T2_NS_24const_host_device_scalarIT1_EEPKT4_lPKT5_lS7_PT6_PKS3_21rocsparse_index_base_b.kd
    .uniform_work_group_size: 1
    .uses_dynamic_stack: false
    .vgpr_count:     15
    .vgpr_spill_count: 0
    .wavefront_size: 32
    .workgroup_processor_mode: 1
  - .args:
      - .offset:         0
        .size:           4
        .value_kind:     by_value
      - .offset:         4
        .size:           4
        .value_kind:     by_value
      - .offset:         8
        .size:           4
        .value_kind:     by_value
      - .offset:         12
        .size:           4
        .value_kind:     by_value
      - .offset:         16
        .size:           4
        .value_kind:     by_value
      - .offset:         20
        .size:           4
        .value_kind:     by_value
      - .offset:         24
        .size:           4
        .value_kind:     by_value
      - .offset:         28
        .size:           4
        .value_kind:     by_value
      - .offset:         32
        .size:           8
        .value_kind:     by_value
      - .actual_access:  read_only
        .address_space:  global
        .offset:         40
        .size:           8
        .value_kind:     global_buffer
      - .offset:         48
        .size:           8
        .value_kind:     by_value
      - .actual_access:  read_only
        .address_space:  global
        .offset:         56
        .size:           8
        .value_kind:     global_buffer
      - .offset:         64
        .size:           8
        .value_kind:     by_value
      - .offset:         72
        .size:           8
        .value_kind:     by_value
      - .address_space:  global
        .offset:         80
        .size:           8
        .value_kind:     global_buffer
      - .actual_access:  read_only
        .address_space:  global
        .offset:         88
        .size:           8
        .value_kind:     global_buffer
      - .offset:         96
        .size:           4
        .value_kind:     by_value
      - .offset:         100
        .size:           1
        .value_kind:     by_value
    .group_segment_fixed_size: 1024
    .kernarg_segment_align: 8
    .kernarg_segment_size: 104
    .language:       OpenCL C
    .language_version:
      - 2
      - 0
    .max_flat_workgroup_size: 512
    .name:           _ZN9rocsparseL16sddmm_ell_kernelILi512ELi1EDF16_iiDF16_DF16_DF16_EEv20rocsparse_operation_S1_16rocsparse_order_S2_T3_S3_S3_T2_NS_24const_host_device_scalarIT1_EEPKT4_lPKT5_lS7_PT6_PKS3_21rocsparse_index_base_b
    .private_segment_fixed_size: 0
    .sgpr_count:     18
    .sgpr_spill_count: 0
    .symbol:         _ZN9rocsparseL16sddmm_ell_kernelILi512ELi1EDF16_iiDF16_DF16_DF16_EEv20rocsparse_operation_S1_16rocsparse_order_S2_T3_S3_S3_T2_NS_24const_host_device_scalarIT1_EEPKT4_lPKT5_lS7_PT6_PKS3_21rocsparse_index_base_b.kd
    .uniform_work_group_size: 1
    .uses_dynamic_stack: false
    .vgpr_count:     13
    .vgpr_spill_count: 0
    .wavefront_size: 32
    .workgroup_processor_mode: 1
  - .args:
      - .offset:         0
        .size:           4
        .value_kind:     by_value
      - .offset:         4
        .size:           4
        .value_kind:     by_value
      - .actual_access:  read_only
        .address_space:  global
        .offset:         8
        .size:           8
        .value_kind:     global_buffer
      - .offset:         16
        .size:           8
        .value_kind:     by_value
      - .offset:         24
        .size:           4
        .value_kind:     by_value
      - .actual_access:  write_only
        .address_space:  global
        .offset:         32
        .size:           8
        .value_kind:     global_buffer
      - .actual_access:  read_only
        .address_space:  global
        .offset:         40
        .size:           8
        .value_kind:     global_buffer
      - .offset:         48
        .size:           4
        .value_kind:     by_value
    .group_segment_fixed_size: 0
    .kernarg_segment_align: 8
    .kernarg_segment_size: 52
    .language:       OpenCL C
    .language_version:
      - 2
      - 0
    .max_flat_workgroup_size: 512
    .name:           _ZN9rocsparseL23sddmm_ell_sample_kernelILi16ELi32EfifEEvT2_S1_PKT3_lS1_PS2_PKS1_21rocsparse_index_base_
    .private_segment_fixed_size: 0
    .sgpr_count:     18
    .sgpr_spill_count: 0
    .symbol:         _ZN9rocsparseL23sddmm_ell_sample_kernelILi16ELi32EfifEEvT2_S1_PKT3_lS1_PS2_PKS1_21rocsparse_index_base_.kd
    .uniform_work_group_size: 1
    .uses_dynamic_stack: false
    .vgpr_count:     12
    .vgpr_spill_count: 0
    .wavefront_size: 32
    .workgroup_processor_mode: 1
  - .args:
      - .offset:         0
        .size:           4
        .value_kind:     by_value
      - .offset:         4
        .size:           4
        .value_kind:     by_value
      - .actual_access:  read_only
        .address_space:  global
        .offset:         8
        .size:           8
        .value_kind:     global_buffer
      - .offset:         16
        .size:           8
        .value_kind:     by_value
      - .offset:         24
        .size:           4
        .value_kind:     by_value
      - .actual_access:  write_only
        .address_space:  global
        .offset:         32
        .size:           8
        .value_kind:     global_buffer
      - .actual_access:  read_only
        .address_space:  global
        .offset:         40
        .size:           8
        .value_kind:     global_buffer
      - .offset:         48
        .size:           4
        .value_kind:     by_value
    .group_segment_fixed_size: 0
    .kernarg_segment_align: 8
    .kernarg_segment_size: 52
    .language:       OpenCL C
    .language_version:
      - 2
      - 0
    .max_flat_workgroup_size: 1024
    .name:           _ZN9rocsparseL23sddmm_ell_sample_kernelILi16ELi64EfifEEvT2_S1_PKT3_lS1_PS2_PKS1_21rocsparse_index_base_
    .private_segment_fixed_size: 0
    .sgpr_count:     18
    .sgpr_spill_count: 0
    .symbol:         _ZN9rocsparseL23sddmm_ell_sample_kernelILi16ELi64EfifEEvT2_S1_PKT3_lS1_PS2_PKS1_21rocsparse_index_base_.kd
    .uniform_work_group_size: 1
    .uses_dynamic_stack: false
    .vgpr_count:     12
    .vgpr_spill_count: 0
    .wavefront_size: 32
    .workgroup_processor_mode: 1
  - .args:
      - .offset:         0
        .size:           4
        .value_kind:     by_value
      - .offset:         4
        .size:           4
        .value_kind:     by_value
      - .offset:         8
        .size:           4
        .value_kind:     by_value
      - .offset:         12
        .size:           4
        .value_kind:     by_value
      - .offset:         16
        .size:           4
        .value_kind:     by_value
      - .offset:         20
        .size:           4
        .value_kind:     by_value
      - .offset:         24
        .size:           4
        .value_kind:     by_value
      - .offset:         28
        .size:           4
        .value_kind:     by_value
      - .offset:         32
        .size:           8
        .value_kind:     by_value
      - .actual_access:  read_only
        .address_space:  global
        .offset:         40
        .size:           8
        .value_kind:     global_buffer
      - .offset:         48
        .size:           8
        .value_kind:     by_value
      - .actual_access:  read_only
        .address_space:  global
        .offset:         56
        .size:           8
        .value_kind:     global_buffer
      - .offset:         64
        .size:           8
        .value_kind:     by_value
      - .offset:         72
        .size:           8
        .value_kind:     by_value
      - .address_space:  global
        .offset:         80
        .size:           8
        .value_kind:     global_buffer
      - .actual_access:  read_only
        .address_space:  global
        .offset:         88
        .size:           8
        .value_kind:     global_buffer
      - .offset:         96
        .size:           4
        .value_kind:     by_value
      - .offset:         100
        .size:           1
        .value_kind:     by_value
    .group_segment_fixed_size: 2048
    .kernarg_segment_align: 8
    .kernarg_segment_size: 104
    .language:       OpenCL C
    .language_version:
      - 2
      - 0
    .max_flat_workgroup_size: 512
    .name:           _ZN9rocsparseL16sddmm_ell_kernelILi512ELi8EfiifffEEv20rocsparse_operation_S1_16rocsparse_order_S2_T3_S3_S3_T2_NS_24const_host_device_scalarIT1_EEPKT4_lPKT5_lS7_PT6_PKS3_21rocsparse_index_base_b
    .private_segment_fixed_size: 0
    .sgpr_count:     19
    .sgpr_spill_count: 0
    .symbol:         _ZN9rocsparseL16sddmm_ell_kernelILi512ELi8EfiifffEEv20rocsparse_operation_S1_16rocsparse_order_S2_T3_S3_S3_T2_NS_24const_host_device_scalarIT1_EEPKT4_lPKT5_lS7_PT6_PKS3_21rocsparse_index_base_b.kd
    .uniform_work_group_size: 1
    .uses_dynamic_stack: false
    .vgpr_count:     16
    .vgpr_spill_count: 0
    .wavefront_size: 32
    .workgroup_processor_mode: 1
  - .args:
      - .offset:         0
        .size:           4
        .value_kind:     by_value
      - .offset:         4
        .size:           4
        .value_kind:     by_value
      - .offset:         8
        .size:           4
        .value_kind:     by_value
      - .offset:         12
        .size:           4
        .value_kind:     by_value
      - .offset:         16
        .size:           4
        .value_kind:     by_value
      - .offset:         20
        .size:           4
        .value_kind:     by_value
      - .offset:         24
        .size:           4
        .value_kind:     by_value
      - .offset:         28
        .size:           4
        .value_kind:     by_value
      - .offset:         32
        .size:           8
        .value_kind:     by_value
      - .actual_access:  read_only
        .address_space:  global
        .offset:         40
        .size:           8
        .value_kind:     global_buffer
      - .offset:         48
        .size:           8
        .value_kind:     by_value
      - .actual_access:  read_only
        .address_space:  global
        .offset:         56
        .size:           8
        .value_kind:     global_buffer
      - .offset:         64
        .size:           8
        .value_kind:     by_value
      - .offset:         72
        .size:           8
        .value_kind:     by_value
      - .address_space:  global
        .offset:         80
        .size:           8
        .value_kind:     global_buffer
      - .actual_access:  read_only
        .address_space:  global
        .offset:         88
        .size:           8
        .value_kind:     global_buffer
      - .offset:         96
        .size:           4
        .value_kind:     by_value
      - .offset:         100
        .size:           1
        .value_kind:     by_value
    .group_segment_fixed_size: 2048
    .kernarg_segment_align: 8
    .kernarg_segment_size: 104
    .language:       OpenCL C
    .language_version:
      - 2
      - 0
    .max_flat_workgroup_size: 512
    .name:           _ZN9rocsparseL16sddmm_ell_kernelILi512ELi4EfiifffEEv20rocsparse_operation_S1_16rocsparse_order_S2_T3_S3_S3_T2_NS_24const_host_device_scalarIT1_EEPKT4_lPKT5_lS7_PT6_PKS3_21rocsparse_index_base_b
    .private_segment_fixed_size: 0
    .sgpr_count:     19
    .sgpr_spill_count: 0
    .symbol:         _ZN9rocsparseL16sddmm_ell_kernelILi512ELi4EfiifffEEv20rocsparse_operation_S1_16rocsparse_order_S2_T3_S3_S3_T2_NS_24const_host_device_scalarIT1_EEPKT4_lPKT5_lS7_PT6_PKS3_21rocsparse_index_base_b.kd
    .uniform_work_group_size: 1
    .uses_dynamic_stack: false
    .vgpr_count:     16
    .vgpr_spill_count: 0
    .wavefront_size: 32
    .workgroup_processor_mode: 1
  - .args:
      - .offset:         0
        .size:           4
        .value_kind:     by_value
      - .offset:         4
        .size:           4
        .value_kind:     by_value
      - .offset:         8
        .size:           4
        .value_kind:     by_value
      - .offset:         12
        .size:           4
        .value_kind:     by_value
      - .offset:         16
        .size:           4
        .value_kind:     by_value
      - .offset:         20
        .size:           4
        .value_kind:     by_value
      - .offset:         24
        .size:           4
        .value_kind:     by_value
      - .offset:         28
        .size:           4
        .value_kind:     by_value
      - .offset:         32
        .size:           8
        .value_kind:     by_value
      - .actual_access:  read_only
        .address_space:  global
        .offset:         40
        .size:           8
        .value_kind:     global_buffer
      - .offset:         48
        .size:           8
        .value_kind:     by_value
      - .actual_access:  read_only
        .address_space:  global
        .offset:         56
        .size:           8
        .value_kind:     global_buffer
      - .offset:         64
        .size:           8
        .value_kind:     by_value
      - .offset:         72
        .size:           8
        .value_kind:     by_value
      - .address_space:  global
        .offset:         80
        .size:           8
        .value_kind:     global_buffer
      - .actual_access:  read_only
        .address_space:  global
        .offset:         88
        .size:           8
        .value_kind:     global_buffer
      - .offset:         96
        .size:           4
        .value_kind:     by_value
      - .offset:         100
        .size:           1
        .value_kind:     by_value
    .group_segment_fixed_size: 2048
    .kernarg_segment_align: 8
    .kernarg_segment_size: 104
    .language:       OpenCL C
    .language_version:
      - 2
      - 0
    .max_flat_workgroup_size: 512
    .name:           _ZN9rocsparseL16sddmm_ell_kernelILi512ELi2EfiifffEEv20rocsparse_operation_S1_16rocsparse_order_S2_T3_S3_S3_T2_NS_24const_host_device_scalarIT1_EEPKT4_lPKT5_lS7_PT6_PKS3_21rocsparse_index_base_b
    .private_segment_fixed_size: 0
    .sgpr_count:     19
    .sgpr_spill_count: 0
    .symbol:         _ZN9rocsparseL16sddmm_ell_kernelILi512ELi2EfiifffEEv20rocsparse_operation_S1_16rocsparse_order_S2_T3_S3_S3_T2_NS_24const_host_device_scalarIT1_EEPKT4_lPKT5_lS7_PT6_PKS3_21rocsparse_index_base_b.kd
    .uniform_work_group_size: 1
    .uses_dynamic_stack: false
    .vgpr_count:     13
    .vgpr_spill_count: 0
    .wavefront_size: 32
    .workgroup_processor_mode: 1
  - .args:
      - .offset:         0
        .size:           4
        .value_kind:     by_value
      - .offset:         4
        .size:           4
        .value_kind:     by_value
      - .offset:         8
        .size:           4
        .value_kind:     by_value
      - .offset:         12
        .size:           4
        .value_kind:     by_value
      - .offset:         16
        .size:           4
        .value_kind:     by_value
      - .offset:         20
        .size:           4
        .value_kind:     by_value
      - .offset:         24
        .size:           4
        .value_kind:     by_value
      - .offset:         28
        .size:           4
        .value_kind:     by_value
      - .offset:         32
        .size:           8
        .value_kind:     by_value
      - .actual_access:  read_only
        .address_space:  global
        .offset:         40
        .size:           8
        .value_kind:     global_buffer
      - .offset:         48
        .size:           8
        .value_kind:     by_value
      - .actual_access:  read_only
        .address_space:  global
        .offset:         56
        .size:           8
        .value_kind:     global_buffer
      - .offset:         64
        .size:           8
        .value_kind:     by_value
      - .offset:         72
        .size:           8
        .value_kind:     by_value
      - .address_space:  global
        .offset:         80
        .size:           8
        .value_kind:     global_buffer
      - .actual_access:  read_only
        .address_space:  global
        .offset:         88
        .size:           8
        .value_kind:     global_buffer
      - .offset:         96
        .size:           4
        .value_kind:     by_value
      - .offset:         100
        .size:           1
        .value_kind:     by_value
    .group_segment_fixed_size: 2048
    .kernarg_segment_align: 8
    .kernarg_segment_size: 104
    .language:       OpenCL C
    .language_version:
      - 2
      - 0
    .max_flat_workgroup_size: 512
    .name:           _ZN9rocsparseL16sddmm_ell_kernelILi512ELi1EfiifffEEv20rocsparse_operation_S1_16rocsparse_order_S2_T3_S3_S3_T2_NS_24const_host_device_scalarIT1_EEPKT4_lPKT5_lS7_PT6_PKS3_21rocsparse_index_base_b
    .private_segment_fixed_size: 0
    .sgpr_count:     20
    .sgpr_spill_count: 0
    .symbol:         _ZN9rocsparseL16sddmm_ell_kernelILi512ELi1EfiifffEEv20rocsparse_operation_S1_16rocsparse_order_S2_T3_S3_S3_T2_NS_24const_host_device_scalarIT1_EEPKT4_lPKT5_lS7_PT6_PKS3_21rocsparse_index_base_b.kd
    .uniform_work_group_size: 1
    .uses_dynamic_stack: false
    .vgpr_count:     11
    .vgpr_spill_count: 0
    .wavefront_size: 32
    .workgroup_processor_mode: 1
  - .args:
      - .offset:         0
        .size:           4
        .value_kind:     by_value
      - .offset:         4
        .size:           4
        .value_kind:     by_value
      - .actual_access:  read_only
        .address_space:  global
        .offset:         8
        .size:           8
        .value_kind:     global_buffer
      - .offset:         16
        .size:           8
        .value_kind:     by_value
      - .offset:         24
        .size:           4
        .value_kind:     by_value
      - .actual_access:  write_only
        .address_space:  global
        .offset:         32
        .size:           8
        .value_kind:     global_buffer
      - .actual_access:  read_only
        .address_space:  global
        .offset:         40
        .size:           8
        .value_kind:     global_buffer
      - .offset:         48
        .size:           4
        .value_kind:     by_value
    .group_segment_fixed_size: 0
    .kernarg_segment_align: 8
    .kernarg_segment_size: 52
    .language:       OpenCL C
    .language_version:
      - 2
      - 0
    .max_flat_workgroup_size: 512
    .name:           _ZN9rocsparseL23sddmm_ell_sample_kernelILi16ELi32EdidEEvT2_S1_PKT3_lS1_PS2_PKS1_21rocsparse_index_base_
    .private_segment_fixed_size: 0
    .sgpr_count:     18
    .sgpr_spill_count: 0
    .symbol:         _ZN9rocsparseL23sddmm_ell_sample_kernelILi16ELi32EdidEEvT2_S1_PKT3_lS1_PS2_PKS1_21rocsparse_index_base_.kd
    .uniform_work_group_size: 1
    .uses_dynamic_stack: false
    .vgpr_count:     11
    .vgpr_spill_count: 0
    .wavefront_size: 32
    .workgroup_processor_mode: 1
  - .args:
      - .offset:         0
        .size:           4
        .value_kind:     by_value
      - .offset:         4
        .size:           4
        .value_kind:     by_value
      - .actual_access:  read_only
        .address_space:  global
        .offset:         8
        .size:           8
        .value_kind:     global_buffer
      - .offset:         16
        .size:           8
        .value_kind:     by_value
      - .offset:         24
        .size:           4
        .value_kind:     by_value
      - .actual_access:  write_only
        .address_space:  global
        .offset:         32
        .size:           8
        .value_kind:     global_buffer
      - .actual_access:  read_only
        .address_space:  global
        .offset:         40
        .size:           8
        .value_kind:     global_buffer
      - .offset:         48
        .size:           4
        .value_kind:     by_value
    .group_segment_fixed_size: 0
    .kernarg_segment_align: 8
    .kernarg_segment_size: 52
    .language:       OpenCL C
    .language_version:
      - 2
      - 0
    .max_flat_workgroup_size: 1024
    .name:           _ZN9rocsparseL23sddmm_ell_sample_kernelILi16ELi64EdidEEvT2_S1_PKT3_lS1_PS2_PKS1_21rocsparse_index_base_
    .private_segment_fixed_size: 0
    .sgpr_count:     18
    .sgpr_spill_count: 0
    .symbol:         _ZN9rocsparseL23sddmm_ell_sample_kernelILi16ELi64EdidEEvT2_S1_PKT3_lS1_PS2_PKS1_21rocsparse_index_base_.kd
    .uniform_work_group_size: 1
    .uses_dynamic_stack: false
    .vgpr_count:     11
    .vgpr_spill_count: 0
    .wavefront_size: 32
    .workgroup_processor_mode: 1
  - .args:
      - .offset:         0
        .size:           4
        .value_kind:     by_value
      - .offset:         4
        .size:           4
        .value_kind:     by_value
      - .offset:         8
        .size:           4
        .value_kind:     by_value
      - .offset:         12
        .size:           4
        .value_kind:     by_value
      - .offset:         16
        .size:           4
        .value_kind:     by_value
      - .offset:         20
        .size:           4
        .value_kind:     by_value
      - .offset:         24
        .size:           4
        .value_kind:     by_value
      - .offset:         28
        .size:           4
        .value_kind:     by_value
      - .offset:         32
        .size:           8
        .value_kind:     by_value
      - .actual_access:  read_only
        .address_space:  global
        .offset:         40
        .size:           8
        .value_kind:     global_buffer
      - .offset:         48
        .size:           8
        .value_kind:     by_value
      - .actual_access:  read_only
        .address_space:  global
        .offset:         56
        .size:           8
        .value_kind:     global_buffer
      - .offset:         64
        .size:           8
        .value_kind:     by_value
      - .offset:         72
        .size:           8
        .value_kind:     by_value
      - .address_space:  global
        .offset:         80
        .size:           8
        .value_kind:     global_buffer
      - .actual_access:  read_only
        .address_space:  global
        .offset:         88
        .size:           8
        .value_kind:     global_buffer
      - .offset:         96
        .size:           4
        .value_kind:     by_value
      - .offset:         100
        .size:           1
        .value_kind:     by_value
    .group_segment_fixed_size: 4096
    .kernarg_segment_align: 8
    .kernarg_segment_size: 104
    .language:       OpenCL C
    .language_version:
      - 2
      - 0
    .max_flat_workgroup_size: 512
    .name:           _ZN9rocsparseL16sddmm_ell_kernelILi512ELi8EdiidddEEv20rocsparse_operation_S1_16rocsparse_order_S2_T3_S3_S3_T2_NS_24const_host_device_scalarIT1_EEPKT4_lPKT5_lS7_PT6_PKS3_21rocsparse_index_base_b
    .private_segment_fixed_size: 0
    .sgpr_count:     18
    .sgpr_spill_count: 0
    .symbol:         _ZN9rocsparseL16sddmm_ell_kernelILi512ELi8EdiidddEEv20rocsparse_operation_S1_16rocsparse_order_S2_T3_S3_S3_T2_NS_24const_host_device_scalarIT1_EEPKT4_lPKT5_lS7_PT6_PKS3_21rocsparse_index_base_b.kd
    .uniform_work_group_size: 1
    .uses_dynamic_stack: false
    .vgpr_count:     20
    .vgpr_spill_count: 0
    .wavefront_size: 32
    .workgroup_processor_mode: 1
  - .args:
      - .offset:         0
        .size:           4
        .value_kind:     by_value
      - .offset:         4
        .size:           4
        .value_kind:     by_value
      - .offset:         8
        .size:           4
        .value_kind:     by_value
      - .offset:         12
        .size:           4
        .value_kind:     by_value
      - .offset:         16
        .size:           4
        .value_kind:     by_value
      - .offset:         20
        .size:           4
        .value_kind:     by_value
      - .offset:         24
        .size:           4
        .value_kind:     by_value
      - .offset:         28
        .size:           4
        .value_kind:     by_value
      - .offset:         32
        .size:           8
        .value_kind:     by_value
      - .actual_access:  read_only
        .address_space:  global
        .offset:         40
        .size:           8
        .value_kind:     global_buffer
      - .offset:         48
        .size:           8
        .value_kind:     by_value
      - .actual_access:  read_only
        .address_space:  global
        .offset:         56
        .size:           8
        .value_kind:     global_buffer
      - .offset:         64
        .size:           8
        .value_kind:     by_value
      - .offset:         72
        .size:           8
        .value_kind:     by_value
      - .address_space:  global
        .offset:         80
        .size:           8
        .value_kind:     global_buffer
      - .actual_access:  read_only
        .address_space:  global
        .offset:         88
        .size:           8
        .value_kind:     global_buffer
      - .offset:         96
        .size:           4
        .value_kind:     by_value
      - .offset:         100
        .size:           1
        .value_kind:     by_value
    .group_segment_fixed_size: 4096
    .kernarg_segment_align: 8
    .kernarg_segment_size: 104
    .language:       OpenCL C
    .language_version:
      - 2
      - 0
    .max_flat_workgroup_size: 512
    .name:           _ZN9rocsparseL16sddmm_ell_kernelILi512ELi4EdiidddEEv20rocsparse_operation_S1_16rocsparse_order_S2_T3_S3_S3_T2_NS_24const_host_device_scalarIT1_EEPKT4_lPKT5_lS7_PT6_PKS3_21rocsparse_index_base_b
    .private_segment_fixed_size: 0
    .sgpr_count:     18
    .sgpr_spill_count: 0
    .symbol:         _ZN9rocsparseL16sddmm_ell_kernelILi512ELi4EdiidddEEv20rocsparse_operation_S1_16rocsparse_order_S2_T3_S3_S3_T2_NS_24const_host_device_scalarIT1_EEPKT4_lPKT5_lS7_PT6_PKS3_21rocsparse_index_base_b.kd
    .uniform_work_group_size: 1
    .uses_dynamic_stack: false
    .vgpr_count:     20
    .vgpr_spill_count: 0
    .wavefront_size: 32
    .workgroup_processor_mode: 1
  - .args:
      - .offset:         0
        .size:           4
        .value_kind:     by_value
      - .offset:         4
        .size:           4
        .value_kind:     by_value
      - .offset:         8
        .size:           4
        .value_kind:     by_value
      - .offset:         12
        .size:           4
        .value_kind:     by_value
      - .offset:         16
        .size:           4
        .value_kind:     by_value
      - .offset:         20
        .size:           4
        .value_kind:     by_value
      - .offset:         24
        .size:           4
        .value_kind:     by_value
      - .offset:         28
        .size:           4
        .value_kind:     by_value
      - .offset:         32
        .size:           8
        .value_kind:     by_value
      - .actual_access:  read_only
        .address_space:  global
        .offset:         40
        .size:           8
        .value_kind:     global_buffer
      - .offset:         48
        .size:           8
        .value_kind:     by_value
      - .actual_access:  read_only
        .address_space:  global
        .offset:         56
        .size:           8
        .value_kind:     global_buffer
      - .offset:         64
        .size:           8
        .value_kind:     by_value
      - .offset:         72
        .size:           8
        .value_kind:     by_value
      - .address_space:  global
        .offset:         80
        .size:           8
        .value_kind:     global_buffer
      - .actual_access:  read_only
        .address_space:  global
        .offset:         88
        .size:           8
        .value_kind:     global_buffer
      - .offset:         96
        .size:           4
        .value_kind:     by_value
      - .offset:         100
        .size:           1
        .value_kind:     by_value
    .group_segment_fixed_size: 4096
    .kernarg_segment_align: 8
    .kernarg_segment_size: 104
    .language:       OpenCL C
    .language_version:
      - 2
      - 0
    .max_flat_workgroup_size: 512
    .name:           _ZN9rocsparseL16sddmm_ell_kernelILi512ELi2EdiidddEEv20rocsparse_operation_S1_16rocsparse_order_S2_T3_S3_S3_T2_NS_24const_host_device_scalarIT1_EEPKT4_lPKT5_lS7_PT6_PKS3_21rocsparse_index_base_b
    .private_segment_fixed_size: 0
    .sgpr_count:     18
    .sgpr_spill_count: 0
    .symbol:         _ZN9rocsparseL16sddmm_ell_kernelILi512ELi2EdiidddEEv20rocsparse_operation_S1_16rocsparse_order_S2_T3_S3_S3_T2_NS_24const_host_device_scalarIT1_EEPKT4_lPKT5_lS7_PT6_PKS3_21rocsparse_index_base_b.kd
    .uniform_work_group_size: 1
    .uses_dynamic_stack: false
    .vgpr_count:     19
    .vgpr_spill_count: 0
    .wavefront_size: 32
    .workgroup_processor_mode: 1
  - .args:
      - .offset:         0
        .size:           4
        .value_kind:     by_value
      - .offset:         4
        .size:           4
        .value_kind:     by_value
      - .offset:         8
        .size:           4
        .value_kind:     by_value
      - .offset:         12
        .size:           4
        .value_kind:     by_value
      - .offset:         16
        .size:           4
        .value_kind:     by_value
      - .offset:         20
        .size:           4
        .value_kind:     by_value
      - .offset:         24
        .size:           4
        .value_kind:     by_value
      - .offset:         28
        .size:           4
        .value_kind:     by_value
      - .offset:         32
        .size:           8
        .value_kind:     by_value
      - .actual_access:  read_only
        .address_space:  global
        .offset:         40
        .size:           8
        .value_kind:     global_buffer
      - .offset:         48
        .size:           8
        .value_kind:     by_value
      - .actual_access:  read_only
        .address_space:  global
        .offset:         56
        .size:           8
        .value_kind:     global_buffer
      - .offset:         64
        .size:           8
        .value_kind:     by_value
      - .offset:         72
        .size:           8
        .value_kind:     by_value
      - .address_space:  global
        .offset:         80
        .size:           8
        .value_kind:     global_buffer
      - .actual_access:  read_only
        .address_space:  global
        .offset:         88
        .size:           8
        .value_kind:     global_buffer
      - .offset:         96
        .size:           4
        .value_kind:     by_value
      - .offset:         100
        .size:           1
        .value_kind:     by_value
    .group_segment_fixed_size: 4096
    .kernarg_segment_align: 8
    .kernarg_segment_size: 104
    .language:       OpenCL C
    .language_version:
      - 2
      - 0
    .max_flat_workgroup_size: 512
    .name:           _ZN9rocsparseL16sddmm_ell_kernelILi512ELi1EdiidddEEv20rocsparse_operation_S1_16rocsparse_order_S2_T3_S3_S3_T2_NS_24const_host_device_scalarIT1_EEPKT4_lPKT5_lS7_PT6_PKS3_21rocsparse_index_base_b
    .private_segment_fixed_size: 0
    .sgpr_count:     18
    .sgpr_spill_count: 0
    .symbol:         _ZN9rocsparseL16sddmm_ell_kernelILi512ELi1EdiidddEEv20rocsparse_operation_S1_16rocsparse_order_S2_T3_S3_S3_T2_NS_24const_host_device_scalarIT1_EEPKT4_lPKT5_lS7_PT6_PKS3_21rocsparse_index_base_b.kd
    .uniform_work_group_size: 1
    .uses_dynamic_stack: false
    .vgpr_count:     17
    .vgpr_spill_count: 0
    .wavefront_size: 32
    .workgroup_processor_mode: 1
  - .args:
      - .offset:         0
        .size:           4
        .value_kind:     by_value
      - .offset:         4
        .size:           4
        .value_kind:     by_value
      - .actual_access:  read_only
        .address_space:  global
        .offset:         8
        .size:           8
        .value_kind:     global_buffer
      - .offset:         16
        .size:           8
        .value_kind:     by_value
      - .offset:         24
        .size:           4
        .value_kind:     by_value
      - .actual_access:  write_only
        .address_space:  global
        .offset:         32
        .size:           8
        .value_kind:     global_buffer
      - .actual_access:  read_only
        .address_space:  global
        .offset:         40
        .size:           8
        .value_kind:     global_buffer
      - .offset:         48
        .size:           4
        .value_kind:     by_value
    .group_segment_fixed_size: 0
    .kernarg_segment_align: 8
    .kernarg_segment_size: 52
    .language:       OpenCL C
    .language_version:
      - 2
      - 0
    .max_flat_workgroup_size: 512
    .name:           _ZN9rocsparseL23sddmm_ell_sample_kernelILi16ELi32E21rocsparse_complex_numIfEiS2_EEvT2_S3_PKT3_lS3_PS4_PKS3_21rocsparse_index_base_
    .private_segment_fixed_size: 0
    .sgpr_count:     18
    .sgpr_spill_count: 0
    .symbol:         _ZN9rocsparseL23sddmm_ell_sample_kernelILi16ELi32E21rocsparse_complex_numIfEiS2_EEvT2_S3_PKT3_lS3_PS4_PKS3_21rocsparse_index_base_.kd
    .uniform_work_group_size: 1
    .uses_dynamic_stack: false
    .vgpr_count:     11
    .vgpr_spill_count: 0
    .wavefront_size: 32
    .workgroup_processor_mode: 1
  - .args:
      - .offset:         0
        .size:           4
        .value_kind:     by_value
      - .offset:         4
        .size:           4
        .value_kind:     by_value
      - .actual_access:  read_only
        .address_space:  global
        .offset:         8
        .size:           8
        .value_kind:     global_buffer
      - .offset:         16
        .size:           8
        .value_kind:     by_value
      - .offset:         24
        .size:           4
        .value_kind:     by_value
      - .actual_access:  write_only
        .address_space:  global
        .offset:         32
        .size:           8
        .value_kind:     global_buffer
      - .actual_access:  read_only
        .address_space:  global
        .offset:         40
        .size:           8
        .value_kind:     global_buffer
      - .offset:         48
        .size:           4
        .value_kind:     by_value
    .group_segment_fixed_size: 0
    .kernarg_segment_align: 8
    .kernarg_segment_size: 52
    .language:       OpenCL C
    .language_version:
      - 2
      - 0
    .max_flat_workgroup_size: 1024
    .name:           _ZN9rocsparseL23sddmm_ell_sample_kernelILi16ELi64E21rocsparse_complex_numIfEiS2_EEvT2_S3_PKT3_lS3_PS4_PKS3_21rocsparse_index_base_
    .private_segment_fixed_size: 0
    .sgpr_count:     18
    .sgpr_spill_count: 0
    .symbol:         _ZN9rocsparseL23sddmm_ell_sample_kernelILi16ELi64E21rocsparse_complex_numIfEiS2_EEvT2_S3_PKT3_lS3_PS4_PKS3_21rocsparse_index_base_.kd
    .uniform_work_group_size: 1
    .uses_dynamic_stack: false
    .vgpr_count:     11
    .vgpr_spill_count: 0
    .wavefront_size: 32
    .workgroup_processor_mode: 1
  - .args:
      - .offset:         0
        .size:           4
        .value_kind:     by_value
      - .offset:         4
        .size:           4
        .value_kind:     by_value
      - .offset:         8
        .size:           4
        .value_kind:     by_value
      - .offset:         12
        .size:           4
        .value_kind:     by_value
      - .offset:         16
        .size:           4
        .value_kind:     by_value
      - .offset:         20
        .size:           4
        .value_kind:     by_value
      - .offset:         24
        .size:           4
        .value_kind:     by_value
      - .offset:         28
        .size:           4
        .value_kind:     by_value
      - .offset:         32
        .size:           8
        .value_kind:     by_value
      - .actual_access:  read_only
        .address_space:  global
        .offset:         40
        .size:           8
        .value_kind:     global_buffer
      - .offset:         48
        .size:           8
        .value_kind:     by_value
      - .actual_access:  read_only
        .address_space:  global
        .offset:         56
        .size:           8
        .value_kind:     global_buffer
      - .offset:         64
        .size:           8
        .value_kind:     by_value
      - .offset:         72
        .size:           8
        .value_kind:     by_value
      - .address_space:  global
        .offset:         80
        .size:           8
        .value_kind:     global_buffer
      - .actual_access:  read_only
        .address_space:  global
        .offset:         88
        .size:           8
        .value_kind:     global_buffer
      - .offset:         96
        .size:           4
        .value_kind:     by_value
      - .offset:         100
        .size:           1
        .value_kind:     by_value
    .group_segment_fixed_size: 4096
    .kernarg_segment_align: 8
    .kernarg_segment_size: 104
    .language:       OpenCL C
    .language_version:
      - 2
      - 0
    .max_flat_workgroup_size: 512
    .name:           _ZN9rocsparseL16sddmm_ell_kernelILi512ELi8E21rocsparse_complex_numIfEiiS2_S2_S2_EEv20rocsparse_operation_S3_16rocsparse_order_S4_T3_S5_S5_T2_NS_24const_host_device_scalarIT1_EEPKT4_lPKT5_lS9_PT6_PKS5_21rocsparse_index_base_b
    .private_segment_fixed_size: 0
    .sgpr_count:     18
    .sgpr_spill_count: 0
    .symbol:         _ZN9rocsparseL16sddmm_ell_kernelILi512ELi8E21rocsparse_complex_numIfEiiS2_S2_S2_EEv20rocsparse_operation_S3_16rocsparse_order_S4_T3_S5_S5_T2_NS_24const_host_device_scalarIT1_EEPKT4_lPKT5_lS9_PT6_PKS5_21rocsparse_index_base_b.kd
    .uniform_work_group_size: 1
    .uses_dynamic_stack: false
    .vgpr_count:     20
    .vgpr_spill_count: 0
    .wavefront_size: 32
    .workgroup_processor_mode: 1
  - .args:
      - .offset:         0
        .size:           4
        .value_kind:     by_value
      - .offset:         4
        .size:           4
        .value_kind:     by_value
      - .offset:         8
        .size:           4
        .value_kind:     by_value
      - .offset:         12
        .size:           4
        .value_kind:     by_value
      - .offset:         16
        .size:           4
        .value_kind:     by_value
      - .offset:         20
        .size:           4
        .value_kind:     by_value
      - .offset:         24
        .size:           4
        .value_kind:     by_value
      - .offset:         28
        .size:           4
        .value_kind:     by_value
      - .offset:         32
        .size:           8
        .value_kind:     by_value
      - .actual_access:  read_only
        .address_space:  global
        .offset:         40
        .size:           8
        .value_kind:     global_buffer
      - .offset:         48
        .size:           8
        .value_kind:     by_value
      - .actual_access:  read_only
        .address_space:  global
        .offset:         56
        .size:           8
        .value_kind:     global_buffer
      - .offset:         64
        .size:           8
        .value_kind:     by_value
      - .offset:         72
        .size:           8
        .value_kind:     by_value
      - .address_space:  global
        .offset:         80
        .size:           8
        .value_kind:     global_buffer
      - .actual_access:  read_only
        .address_space:  global
        .offset:         88
        .size:           8
        .value_kind:     global_buffer
      - .offset:         96
        .size:           4
        .value_kind:     by_value
      - .offset:         100
        .size:           1
        .value_kind:     by_value
    .group_segment_fixed_size: 4096
    .kernarg_segment_align: 8
    .kernarg_segment_size: 104
    .language:       OpenCL C
    .language_version:
      - 2
      - 0
    .max_flat_workgroup_size: 512
    .name:           _ZN9rocsparseL16sddmm_ell_kernelILi512ELi4E21rocsparse_complex_numIfEiiS2_S2_S2_EEv20rocsparse_operation_S3_16rocsparse_order_S4_T3_S5_S5_T2_NS_24const_host_device_scalarIT1_EEPKT4_lPKT5_lS9_PT6_PKS5_21rocsparse_index_base_b
    .private_segment_fixed_size: 0
    .sgpr_count:     18
    .sgpr_spill_count: 0
    .symbol:         _ZN9rocsparseL16sddmm_ell_kernelILi512ELi4E21rocsparse_complex_numIfEiiS2_S2_S2_EEv20rocsparse_operation_S3_16rocsparse_order_S4_T3_S5_S5_T2_NS_24const_host_device_scalarIT1_EEPKT4_lPKT5_lS9_PT6_PKS5_21rocsparse_index_base_b.kd
    .uniform_work_group_size: 1
    .uses_dynamic_stack: false
    .vgpr_count:     20
    .vgpr_spill_count: 0
    .wavefront_size: 32
    .workgroup_processor_mode: 1
  - .args:
      - .offset:         0
        .size:           4
        .value_kind:     by_value
      - .offset:         4
        .size:           4
        .value_kind:     by_value
      - .offset:         8
        .size:           4
        .value_kind:     by_value
      - .offset:         12
        .size:           4
        .value_kind:     by_value
      - .offset:         16
        .size:           4
        .value_kind:     by_value
      - .offset:         20
        .size:           4
        .value_kind:     by_value
      - .offset:         24
        .size:           4
        .value_kind:     by_value
      - .offset:         28
        .size:           4
        .value_kind:     by_value
      - .offset:         32
        .size:           8
        .value_kind:     by_value
      - .actual_access:  read_only
        .address_space:  global
        .offset:         40
        .size:           8
        .value_kind:     global_buffer
      - .offset:         48
        .size:           8
        .value_kind:     by_value
      - .actual_access:  read_only
        .address_space:  global
        .offset:         56
        .size:           8
        .value_kind:     global_buffer
      - .offset:         64
        .size:           8
        .value_kind:     by_value
      - .offset:         72
        .size:           8
        .value_kind:     by_value
      - .address_space:  global
        .offset:         80
        .size:           8
        .value_kind:     global_buffer
      - .actual_access:  read_only
        .address_space:  global
        .offset:         88
        .size:           8
        .value_kind:     global_buffer
      - .offset:         96
        .size:           4
        .value_kind:     by_value
      - .offset:         100
        .size:           1
        .value_kind:     by_value
    .group_segment_fixed_size: 4096
    .kernarg_segment_align: 8
    .kernarg_segment_size: 104
    .language:       OpenCL C
    .language_version:
      - 2
      - 0
    .max_flat_workgroup_size: 512
    .name:           _ZN9rocsparseL16sddmm_ell_kernelILi512ELi2E21rocsparse_complex_numIfEiiS2_S2_S2_EEv20rocsparse_operation_S3_16rocsparse_order_S4_T3_S5_S5_T2_NS_24const_host_device_scalarIT1_EEPKT4_lPKT5_lS9_PT6_PKS5_21rocsparse_index_base_b
    .private_segment_fixed_size: 0
    .sgpr_count:     18
    .sgpr_spill_count: 0
    .symbol:         _ZN9rocsparseL16sddmm_ell_kernelILi512ELi2E21rocsparse_complex_numIfEiiS2_S2_S2_EEv20rocsparse_operation_S3_16rocsparse_order_S4_T3_S5_S5_T2_NS_24const_host_device_scalarIT1_EEPKT4_lPKT5_lS9_PT6_PKS5_21rocsparse_index_base_b.kd
    .uniform_work_group_size: 1
    .uses_dynamic_stack: false
    .vgpr_count:     20
    .vgpr_spill_count: 0
    .wavefront_size: 32
    .workgroup_processor_mode: 1
  - .args:
      - .offset:         0
        .size:           4
        .value_kind:     by_value
      - .offset:         4
        .size:           4
        .value_kind:     by_value
      - .offset:         8
        .size:           4
        .value_kind:     by_value
      - .offset:         12
        .size:           4
        .value_kind:     by_value
      - .offset:         16
        .size:           4
        .value_kind:     by_value
      - .offset:         20
        .size:           4
        .value_kind:     by_value
      - .offset:         24
        .size:           4
        .value_kind:     by_value
      - .offset:         28
        .size:           4
        .value_kind:     by_value
      - .offset:         32
        .size:           8
        .value_kind:     by_value
      - .actual_access:  read_only
        .address_space:  global
        .offset:         40
        .size:           8
        .value_kind:     global_buffer
      - .offset:         48
        .size:           8
        .value_kind:     by_value
      - .actual_access:  read_only
        .address_space:  global
        .offset:         56
        .size:           8
        .value_kind:     global_buffer
      - .offset:         64
        .size:           8
        .value_kind:     by_value
      - .offset:         72
        .size:           8
        .value_kind:     by_value
      - .address_space:  global
        .offset:         80
        .size:           8
        .value_kind:     global_buffer
      - .actual_access:  read_only
        .address_space:  global
        .offset:         88
        .size:           8
        .value_kind:     global_buffer
      - .offset:         96
        .size:           4
        .value_kind:     by_value
      - .offset:         100
        .size:           1
        .value_kind:     by_value
    .group_segment_fixed_size: 4096
    .kernarg_segment_align: 8
    .kernarg_segment_size: 104
    .language:       OpenCL C
    .language_version:
      - 2
      - 0
    .max_flat_workgroup_size: 512
    .name:           _ZN9rocsparseL16sddmm_ell_kernelILi512ELi1E21rocsparse_complex_numIfEiiS2_S2_S2_EEv20rocsparse_operation_S3_16rocsparse_order_S4_T3_S5_S5_T2_NS_24const_host_device_scalarIT1_EEPKT4_lPKT5_lS9_PT6_PKS5_21rocsparse_index_base_b
    .private_segment_fixed_size: 0
    .sgpr_count:     18
    .sgpr_spill_count: 0
    .symbol:         _ZN9rocsparseL16sddmm_ell_kernelILi512ELi1E21rocsparse_complex_numIfEiiS2_S2_S2_EEv20rocsparse_operation_S3_16rocsparse_order_S4_T3_S5_S5_T2_NS_24const_host_device_scalarIT1_EEPKT4_lPKT5_lS9_PT6_PKS5_21rocsparse_index_base_b.kd
    .uniform_work_group_size: 1
    .uses_dynamic_stack: false
    .vgpr_count:     18
    .vgpr_spill_count: 0
    .wavefront_size: 32
    .workgroup_processor_mode: 1
  - .args:
      - .offset:         0
        .size:           4
        .value_kind:     by_value
      - .offset:         4
        .size:           4
        .value_kind:     by_value
      - .actual_access:  read_only
        .address_space:  global
        .offset:         8
        .size:           8
        .value_kind:     global_buffer
      - .offset:         16
        .size:           8
        .value_kind:     by_value
      - .offset:         24
        .size:           4
        .value_kind:     by_value
      - .actual_access:  write_only
        .address_space:  global
        .offset:         32
        .size:           8
        .value_kind:     global_buffer
      - .actual_access:  read_only
        .address_space:  global
        .offset:         40
        .size:           8
        .value_kind:     global_buffer
      - .offset:         48
        .size:           4
        .value_kind:     by_value
    .group_segment_fixed_size: 0
    .kernarg_segment_align: 8
    .kernarg_segment_size: 52
    .language:       OpenCL C
    .language_version:
      - 2
      - 0
    .max_flat_workgroup_size: 512
    .name:           _ZN9rocsparseL23sddmm_ell_sample_kernelILi16ELi32E21rocsparse_complex_numIdEiS2_EEvT2_S3_PKT3_lS3_PS4_PKS3_21rocsparse_index_base_
    .private_segment_fixed_size: 0
    .sgpr_count:     18
    .sgpr_spill_count: 0
    .symbol:         _ZN9rocsparseL23sddmm_ell_sample_kernelILi16ELi32E21rocsparse_complex_numIdEiS2_EEvT2_S3_PKT3_lS3_PS4_PKS3_21rocsparse_index_base_.kd
    .uniform_work_group_size: 1
    .uses_dynamic_stack: false
    .vgpr_count:     12
    .vgpr_spill_count: 0
    .wavefront_size: 32
    .workgroup_processor_mode: 1
  - .args:
      - .offset:         0
        .size:           4
        .value_kind:     by_value
      - .offset:         4
        .size:           4
        .value_kind:     by_value
      - .actual_access:  read_only
        .address_space:  global
        .offset:         8
        .size:           8
        .value_kind:     global_buffer
      - .offset:         16
        .size:           8
        .value_kind:     by_value
      - .offset:         24
        .size:           4
        .value_kind:     by_value
      - .actual_access:  write_only
        .address_space:  global
        .offset:         32
        .size:           8
        .value_kind:     global_buffer
      - .actual_access:  read_only
        .address_space:  global
        .offset:         40
        .size:           8
        .value_kind:     global_buffer
      - .offset:         48
        .size:           4
        .value_kind:     by_value
    .group_segment_fixed_size: 0
    .kernarg_segment_align: 8
    .kernarg_segment_size: 52
    .language:       OpenCL C
    .language_version:
      - 2
      - 0
    .max_flat_workgroup_size: 1024
    .name:           _ZN9rocsparseL23sddmm_ell_sample_kernelILi16ELi64E21rocsparse_complex_numIdEiS2_EEvT2_S3_PKT3_lS3_PS4_PKS3_21rocsparse_index_base_
    .private_segment_fixed_size: 0
    .sgpr_count:     18
    .sgpr_spill_count: 0
    .symbol:         _ZN9rocsparseL23sddmm_ell_sample_kernelILi16ELi64E21rocsparse_complex_numIdEiS2_EEvT2_S3_PKT3_lS3_PS4_PKS3_21rocsparse_index_base_.kd
    .uniform_work_group_size: 1
    .uses_dynamic_stack: false
    .vgpr_count:     12
    .vgpr_spill_count: 0
    .wavefront_size: 32
    .workgroup_processor_mode: 1
  - .args:
      - .offset:         0
        .size:           4
        .value_kind:     by_value
      - .offset:         4
        .size:           4
        .value_kind:     by_value
      - .offset:         8
        .size:           4
        .value_kind:     by_value
      - .offset:         12
        .size:           4
        .value_kind:     by_value
      - .offset:         16
        .size:           4
        .value_kind:     by_value
      - .offset:         20
        .size:           4
        .value_kind:     by_value
      - .offset:         24
        .size:           4
        .value_kind:     by_value
      - .offset:         28
        .size:           4
        .value_kind:     by_value
      - .offset:         32
        .size:           16
        .value_kind:     by_value
      - .actual_access:  read_only
        .address_space:  global
        .offset:         48
        .size:           8
        .value_kind:     global_buffer
      - .offset:         56
        .size:           8
        .value_kind:     by_value
      - .actual_access:  read_only
        .address_space:  global
        .offset:         64
        .size:           8
        .value_kind:     global_buffer
      - .offset:         72
        .size:           8
        .value_kind:     by_value
      - .offset:         80
        .size:           16
        .value_kind:     by_value
      - .address_space:  global
        .offset:         96
        .size:           8
        .value_kind:     global_buffer
      - .actual_access:  read_only
        .address_space:  global
        .offset:         104
        .size:           8
        .value_kind:     global_buffer
      - .offset:         112
        .size:           4
        .value_kind:     by_value
      - .offset:         116
        .size:           1
        .value_kind:     by_value
    .group_segment_fixed_size: 16384
    .kernarg_segment_align: 8
    .kernarg_segment_size: 120
    .language:       OpenCL C
    .language_version:
      - 2
      - 0
    .max_flat_workgroup_size: 512
    .name:           _ZN9rocsparseL16sddmm_ell_kernelILi512ELi8E21rocsparse_complex_numIdEiiS2_S2_S2_EEv20rocsparse_operation_S3_16rocsparse_order_S4_T3_S5_S5_T2_NS_24const_host_device_scalarIT1_EEPKT4_lPKT5_lS9_PT6_PKS5_21rocsparse_index_base_b
    .private_segment_fixed_size: 0
    .sgpr_count:     20
    .sgpr_spill_count: 0
    .symbol:         _ZN9rocsparseL16sddmm_ell_kernelILi512ELi8E21rocsparse_complex_numIdEiiS2_S2_S2_EEv20rocsparse_operation_S3_16rocsparse_order_S4_T3_S5_S5_T2_NS_24const_host_device_scalarIT1_EEPKT4_lPKT5_lS9_PT6_PKS5_21rocsparse_index_base_b.kd
    .uniform_work_group_size: 1
    .uses_dynamic_stack: false
    .vgpr_count:     31
    .vgpr_spill_count: 0
    .wavefront_size: 32
    .workgroup_processor_mode: 1
  - .args:
      - .offset:         0
        .size:           4
        .value_kind:     by_value
      - .offset:         4
        .size:           4
        .value_kind:     by_value
      - .offset:         8
        .size:           4
        .value_kind:     by_value
      - .offset:         12
        .size:           4
        .value_kind:     by_value
      - .offset:         16
        .size:           4
        .value_kind:     by_value
      - .offset:         20
        .size:           4
        .value_kind:     by_value
      - .offset:         24
        .size:           4
        .value_kind:     by_value
      - .offset:         28
        .size:           4
        .value_kind:     by_value
      - .offset:         32
        .size:           16
        .value_kind:     by_value
      - .actual_access:  read_only
        .address_space:  global
        .offset:         48
        .size:           8
        .value_kind:     global_buffer
      - .offset:         56
        .size:           8
        .value_kind:     by_value
      - .actual_access:  read_only
        .address_space:  global
        .offset:         64
        .size:           8
        .value_kind:     global_buffer
      - .offset:         72
        .size:           8
        .value_kind:     by_value
      - .offset:         80
        .size:           16
        .value_kind:     by_value
      - .address_space:  global
        .offset:         96
        .size:           8
        .value_kind:     global_buffer
      - .actual_access:  read_only
        .address_space:  global
        .offset:         104
        .size:           8
        .value_kind:     global_buffer
      - .offset:         112
        .size:           4
        .value_kind:     by_value
      - .offset:         116
        .size:           1
        .value_kind:     by_value
    .group_segment_fixed_size: 16384
    .kernarg_segment_align: 8
    .kernarg_segment_size: 120
    .language:       OpenCL C
    .language_version:
      - 2
      - 0
    .max_flat_workgroup_size: 512
    .name:           _ZN9rocsparseL16sddmm_ell_kernelILi512ELi4E21rocsparse_complex_numIdEiiS2_S2_S2_EEv20rocsparse_operation_S3_16rocsparse_order_S4_T3_S5_S5_T2_NS_24const_host_device_scalarIT1_EEPKT4_lPKT5_lS9_PT6_PKS5_21rocsparse_index_base_b
    .private_segment_fixed_size: 0
    .sgpr_count:     20
    .sgpr_spill_count: 0
    .symbol:         _ZN9rocsparseL16sddmm_ell_kernelILi512ELi4E21rocsparse_complex_numIdEiiS2_S2_S2_EEv20rocsparse_operation_S3_16rocsparse_order_S4_T3_S5_S5_T2_NS_24const_host_device_scalarIT1_EEPKT4_lPKT5_lS9_PT6_PKS5_21rocsparse_index_base_b.kd
    .uniform_work_group_size: 1
    .uses_dynamic_stack: false
    .vgpr_count:     31
    .vgpr_spill_count: 0
    .wavefront_size: 32
    .workgroup_processor_mode: 1
  - .args:
      - .offset:         0
        .size:           4
        .value_kind:     by_value
      - .offset:         4
        .size:           4
        .value_kind:     by_value
      - .offset:         8
        .size:           4
        .value_kind:     by_value
      - .offset:         12
        .size:           4
        .value_kind:     by_value
      - .offset:         16
        .size:           4
        .value_kind:     by_value
      - .offset:         20
        .size:           4
        .value_kind:     by_value
      - .offset:         24
        .size:           4
        .value_kind:     by_value
      - .offset:         28
        .size:           4
        .value_kind:     by_value
      - .offset:         32
        .size:           16
        .value_kind:     by_value
      - .actual_access:  read_only
        .address_space:  global
        .offset:         48
        .size:           8
        .value_kind:     global_buffer
      - .offset:         56
        .size:           8
        .value_kind:     by_value
      - .actual_access:  read_only
        .address_space:  global
        .offset:         64
        .size:           8
        .value_kind:     global_buffer
      - .offset:         72
        .size:           8
        .value_kind:     by_value
      - .offset:         80
        .size:           16
        .value_kind:     by_value
      - .address_space:  global
        .offset:         96
        .size:           8
        .value_kind:     global_buffer
      - .actual_access:  read_only
        .address_space:  global
        .offset:         104
        .size:           8
        .value_kind:     global_buffer
      - .offset:         112
        .size:           4
        .value_kind:     by_value
      - .offset:         116
        .size:           1
        .value_kind:     by_value
    .group_segment_fixed_size: 16384
    .kernarg_segment_align: 8
    .kernarg_segment_size: 120
    .language:       OpenCL C
    .language_version:
      - 2
      - 0
    .max_flat_workgroup_size: 512
    .name:           _ZN9rocsparseL16sddmm_ell_kernelILi512ELi2E21rocsparse_complex_numIdEiiS2_S2_S2_EEv20rocsparse_operation_S3_16rocsparse_order_S4_T3_S5_S5_T2_NS_24const_host_device_scalarIT1_EEPKT4_lPKT5_lS9_PT6_PKS5_21rocsparse_index_base_b
    .private_segment_fixed_size: 0
    .sgpr_count:     20
    .sgpr_spill_count: 0
    .symbol:         _ZN9rocsparseL16sddmm_ell_kernelILi512ELi2E21rocsparse_complex_numIdEiiS2_S2_S2_EEv20rocsparse_operation_S3_16rocsparse_order_S4_T3_S5_S5_T2_NS_24const_host_device_scalarIT1_EEPKT4_lPKT5_lS9_PT6_PKS5_21rocsparse_index_base_b.kd
    .uniform_work_group_size: 1
    .uses_dynamic_stack: false
    .vgpr_count:     31
    .vgpr_spill_count: 0
    .wavefront_size: 32
    .workgroup_processor_mode: 1
  - .args:
      - .offset:         0
        .size:           4
        .value_kind:     by_value
      - .offset:         4
        .size:           4
        .value_kind:     by_value
      - .offset:         8
        .size:           4
        .value_kind:     by_value
      - .offset:         12
        .size:           4
        .value_kind:     by_value
      - .offset:         16
        .size:           4
        .value_kind:     by_value
      - .offset:         20
        .size:           4
        .value_kind:     by_value
      - .offset:         24
        .size:           4
        .value_kind:     by_value
      - .offset:         28
        .size:           4
        .value_kind:     by_value
      - .offset:         32
        .size:           16
        .value_kind:     by_value
      - .actual_access:  read_only
        .address_space:  global
        .offset:         48
        .size:           8
        .value_kind:     global_buffer
      - .offset:         56
        .size:           8
        .value_kind:     by_value
      - .actual_access:  read_only
        .address_space:  global
        .offset:         64
        .size:           8
        .value_kind:     global_buffer
      - .offset:         72
        .size:           8
        .value_kind:     by_value
      - .offset:         80
        .size:           16
        .value_kind:     by_value
      - .address_space:  global
        .offset:         96
        .size:           8
        .value_kind:     global_buffer
      - .actual_access:  read_only
        .address_space:  global
        .offset:         104
        .size:           8
        .value_kind:     global_buffer
      - .offset:         112
        .size:           4
        .value_kind:     by_value
      - .offset:         116
        .size:           1
        .value_kind:     by_value
    .group_segment_fixed_size: 16384
    .kernarg_segment_align: 8
    .kernarg_segment_size: 120
    .language:       OpenCL C
    .language_version:
      - 2
      - 0
    .max_flat_workgroup_size: 512
    .name:           _ZN9rocsparseL16sddmm_ell_kernelILi512ELi1E21rocsparse_complex_numIdEiiS2_S2_S2_EEv20rocsparse_operation_S3_16rocsparse_order_S4_T3_S5_S5_T2_NS_24const_host_device_scalarIT1_EEPKT4_lPKT5_lS9_PT6_PKS5_21rocsparse_index_base_b
    .private_segment_fixed_size: 0
    .sgpr_count:     20
    .sgpr_spill_count: 0
    .symbol:         _ZN9rocsparseL16sddmm_ell_kernelILi512ELi1E21rocsparse_complex_numIdEiiS2_S2_S2_EEv20rocsparse_operation_S3_16rocsparse_order_S4_T3_S5_S5_T2_NS_24const_host_device_scalarIT1_EEPKT4_lPKT5_lS9_PT6_PKS5_21rocsparse_index_base_b.kd
    .uniform_work_group_size: 1
    .uses_dynamic_stack: false
    .vgpr_count:     29
    .vgpr_spill_count: 0
    .wavefront_size: 32
    .workgroup_processor_mode: 1
  - .args:
      - .offset:         0
        .size:           8
        .value_kind:     by_value
      - .offset:         8
        .size:           8
        .value_kind:     by_value
      - .actual_access:  read_only
        .address_space:  global
        .offset:         16
        .size:           8
        .value_kind:     global_buffer
      - .offset:         24
        .size:           8
        .value_kind:     by_value
      - .offset:         32
        .size:           8
        .value_kind:     by_value
      - .actual_access:  write_only
        .address_space:  global
        .offset:         40
        .size:           8
        .value_kind:     global_buffer
      - .actual_access:  read_only
        .address_space:  global
        .offset:         48
        .size:           8
        .value_kind:     global_buffer
      - .offset:         56
        .size:           4
        .value_kind:     by_value
    .group_segment_fixed_size: 0
    .kernarg_segment_align: 8
    .kernarg_segment_size: 60
    .language:       OpenCL C
    .language_version:
      - 2
      - 0
    .max_flat_workgroup_size: 512
    .name:           _ZN9rocsparseL23sddmm_ell_sample_kernelILi16ELi32EDF16_lDF16_EEvT2_S1_PKT3_lS1_PS2_PKS1_21rocsparse_index_base_
    .private_segment_fixed_size: 0
    .sgpr_count:     18
    .sgpr_spill_count: 0
    .symbol:         _ZN9rocsparseL23sddmm_ell_sample_kernelILi16ELi32EDF16_lDF16_EEvT2_S1_PKT3_lS1_PS2_PKS1_21rocsparse_index_base_.kd
    .uniform_work_group_size: 1
    .uses_dynamic_stack: false
    .vgpr_count:     12
    .vgpr_spill_count: 0
    .wavefront_size: 32
    .workgroup_processor_mode: 1
  - .args:
      - .offset:         0
        .size:           8
        .value_kind:     by_value
      - .offset:         8
        .size:           8
        .value_kind:     by_value
      - .actual_access:  read_only
        .address_space:  global
        .offset:         16
        .size:           8
        .value_kind:     global_buffer
      - .offset:         24
        .size:           8
        .value_kind:     by_value
      - .offset:         32
        .size:           8
        .value_kind:     by_value
      - .actual_access:  write_only
        .address_space:  global
        .offset:         40
        .size:           8
        .value_kind:     global_buffer
      - .actual_access:  read_only
        .address_space:  global
        .offset:         48
        .size:           8
        .value_kind:     global_buffer
      - .offset:         56
        .size:           4
        .value_kind:     by_value
    .group_segment_fixed_size: 0
    .kernarg_segment_align: 8
    .kernarg_segment_size: 60
    .language:       OpenCL C
    .language_version:
      - 2
      - 0
    .max_flat_workgroup_size: 1024
    .name:           _ZN9rocsparseL23sddmm_ell_sample_kernelILi16ELi64EDF16_lDF16_EEvT2_S1_PKT3_lS1_PS2_PKS1_21rocsparse_index_base_
    .private_segment_fixed_size: 0
    .sgpr_count:     18
    .sgpr_spill_count: 0
    .symbol:         _ZN9rocsparseL23sddmm_ell_sample_kernelILi16ELi64EDF16_lDF16_EEvT2_S1_PKT3_lS1_PS2_PKS1_21rocsparse_index_base_.kd
    .uniform_work_group_size: 1
    .uses_dynamic_stack: false
    .vgpr_count:     12
    .vgpr_spill_count: 0
    .wavefront_size: 32
    .workgroup_processor_mode: 1
  - .args:
      - .offset:         0
        .size:           4
        .value_kind:     by_value
      - .offset:         4
        .size:           4
        .value_kind:     by_value
      - .offset:         8
        .size:           4
        .value_kind:     by_value
      - .offset:         12
        .size:           4
        .value_kind:     by_value
      - .offset:         16
        .size:           8
        .value_kind:     by_value
      - .offset:         24
        .size:           8
        .value_kind:     by_value
      - .offset:         32
        .size:           8
        .value_kind:     by_value
      - .offset:         40
        .size:           8
        .value_kind:     by_value
      - .offset:         48
        .size:           8
        .value_kind:     by_value
      - .actual_access:  read_only
        .address_space:  global
        .offset:         56
        .size:           8
        .value_kind:     global_buffer
      - .offset:         64
        .size:           8
        .value_kind:     by_value
      - .actual_access:  read_only
        .address_space:  global
        .offset:         72
        .size:           8
        .value_kind:     global_buffer
      - .offset:         80
        .size:           8
        .value_kind:     by_value
      - .offset:         88
        .size:           8
        .value_kind:     by_value
      - .address_space:  global
        .offset:         96
        .size:           8
        .value_kind:     global_buffer
      - .actual_access:  read_only
        .address_space:  global
        .offset:         104
        .size:           8
        .value_kind:     global_buffer
      - .offset:         112
        .size:           4
        .value_kind:     by_value
      - .offset:         116
        .size:           1
        .value_kind:     by_value
    .group_segment_fixed_size: 1024
    .kernarg_segment_align: 8
    .kernarg_segment_size: 120
    .language:       OpenCL C
    .language_version:
      - 2
      - 0
    .max_flat_workgroup_size: 512
    .name:           _ZN9rocsparseL16sddmm_ell_kernelILi512ELi8EDF16_llDF16_DF16_DF16_EEv20rocsparse_operation_S1_16rocsparse_order_S2_T3_S3_S3_T2_NS_24const_host_device_scalarIT1_EEPKT4_lPKT5_lS7_PT6_PKS3_21rocsparse_index_base_b
    .private_segment_fixed_size: 0
    .sgpr_count:     20
    .sgpr_spill_count: 0
    .symbol:         _ZN9rocsparseL16sddmm_ell_kernelILi512ELi8EDF16_llDF16_DF16_DF16_EEv20rocsparse_operation_S1_16rocsparse_order_S2_T3_S3_S3_T2_NS_24const_host_device_scalarIT1_EEPKT4_lPKT5_lS7_PT6_PKS3_21rocsparse_index_base_b.kd
    .uniform_work_group_size: 1
    .uses_dynamic_stack: false
    .vgpr_count:     19
    .vgpr_spill_count: 0
    .wavefront_size: 32
    .workgroup_processor_mode: 1
  - .args:
      - .offset:         0
        .size:           4
        .value_kind:     by_value
      - .offset:         4
        .size:           4
        .value_kind:     by_value
      - .offset:         8
        .size:           4
        .value_kind:     by_value
      - .offset:         12
        .size:           4
        .value_kind:     by_value
      - .offset:         16
        .size:           8
        .value_kind:     by_value
      - .offset:         24
        .size:           8
        .value_kind:     by_value
      - .offset:         32
        .size:           8
        .value_kind:     by_value
      - .offset:         40
        .size:           8
        .value_kind:     by_value
      - .offset:         48
        .size:           8
        .value_kind:     by_value
      - .actual_access:  read_only
        .address_space:  global
        .offset:         56
        .size:           8
        .value_kind:     global_buffer
      - .offset:         64
        .size:           8
        .value_kind:     by_value
      - .actual_access:  read_only
        .address_space:  global
        .offset:         72
        .size:           8
        .value_kind:     global_buffer
      - .offset:         80
        .size:           8
        .value_kind:     by_value
      - .offset:         88
        .size:           8
        .value_kind:     by_value
      - .address_space:  global
        .offset:         96
        .size:           8
        .value_kind:     global_buffer
      - .actual_access:  read_only
        .address_space:  global
        .offset:         104
        .size:           8
        .value_kind:     global_buffer
      - .offset:         112
        .size:           4
        .value_kind:     by_value
      - .offset:         116
        .size:           1
        .value_kind:     by_value
    .group_segment_fixed_size: 1024
    .kernarg_segment_align: 8
    .kernarg_segment_size: 120
    .language:       OpenCL C
    .language_version:
      - 2
      - 0
    .max_flat_workgroup_size: 512
    .name:           _ZN9rocsparseL16sddmm_ell_kernelILi512ELi4EDF16_llDF16_DF16_DF16_EEv20rocsparse_operation_S1_16rocsparse_order_S2_T3_S3_S3_T2_NS_24const_host_device_scalarIT1_EEPKT4_lPKT5_lS7_PT6_PKS3_21rocsparse_index_base_b
    .private_segment_fixed_size: 0
    .sgpr_count:     20
    .sgpr_spill_count: 0
    .symbol:         _ZN9rocsparseL16sddmm_ell_kernelILi512ELi4EDF16_llDF16_DF16_DF16_EEv20rocsparse_operation_S1_16rocsparse_order_S2_T3_S3_S3_T2_NS_24const_host_device_scalarIT1_EEPKT4_lPKT5_lS7_PT6_PKS3_21rocsparse_index_base_b.kd
    .uniform_work_group_size: 1
    .uses_dynamic_stack: false
    .vgpr_count:     19
    .vgpr_spill_count: 0
    .wavefront_size: 32
    .workgroup_processor_mode: 1
  - .args:
      - .offset:         0
        .size:           4
        .value_kind:     by_value
      - .offset:         4
        .size:           4
        .value_kind:     by_value
      - .offset:         8
        .size:           4
        .value_kind:     by_value
      - .offset:         12
        .size:           4
        .value_kind:     by_value
      - .offset:         16
        .size:           8
        .value_kind:     by_value
      - .offset:         24
        .size:           8
        .value_kind:     by_value
      - .offset:         32
        .size:           8
        .value_kind:     by_value
      - .offset:         40
        .size:           8
        .value_kind:     by_value
      - .offset:         48
        .size:           8
        .value_kind:     by_value
      - .actual_access:  read_only
        .address_space:  global
        .offset:         56
        .size:           8
        .value_kind:     global_buffer
      - .offset:         64
        .size:           8
        .value_kind:     by_value
      - .actual_access:  read_only
        .address_space:  global
        .offset:         72
        .size:           8
        .value_kind:     global_buffer
      - .offset:         80
        .size:           8
        .value_kind:     by_value
      - .offset:         88
        .size:           8
        .value_kind:     by_value
      - .address_space:  global
        .offset:         96
        .size:           8
        .value_kind:     global_buffer
      - .actual_access:  read_only
        .address_space:  global
        .offset:         104
        .size:           8
        .value_kind:     global_buffer
      - .offset:         112
        .size:           4
        .value_kind:     by_value
      - .offset:         116
        .size:           1
        .value_kind:     by_value
    .group_segment_fixed_size: 1024
    .kernarg_segment_align: 8
    .kernarg_segment_size: 120
    .language:       OpenCL C
    .language_version:
      - 2
      - 0
    .max_flat_workgroup_size: 512
    .name:           _ZN9rocsparseL16sddmm_ell_kernelILi512ELi2EDF16_llDF16_DF16_DF16_EEv20rocsparse_operation_S1_16rocsparse_order_S2_T3_S3_S3_T2_NS_24const_host_device_scalarIT1_EEPKT4_lPKT5_lS7_PT6_PKS3_21rocsparse_index_base_b
    .private_segment_fixed_size: 0
    .sgpr_count:     20
    .sgpr_spill_count: 0
    .symbol:         _ZN9rocsparseL16sddmm_ell_kernelILi512ELi2EDF16_llDF16_DF16_DF16_EEv20rocsparse_operation_S1_16rocsparse_order_S2_T3_S3_S3_T2_NS_24const_host_device_scalarIT1_EEPKT4_lPKT5_lS7_PT6_PKS3_21rocsparse_index_base_b.kd
    .uniform_work_group_size: 1
    .uses_dynamic_stack: false
    .vgpr_count:     18
    .vgpr_spill_count: 0
    .wavefront_size: 32
    .workgroup_processor_mode: 1
  - .args:
      - .offset:         0
        .size:           4
        .value_kind:     by_value
      - .offset:         4
        .size:           4
        .value_kind:     by_value
      - .offset:         8
        .size:           4
        .value_kind:     by_value
      - .offset:         12
        .size:           4
        .value_kind:     by_value
      - .offset:         16
        .size:           8
        .value_kind:     by_value
      - .offset:         24
        .size:           8
        .value_kind:     by_value
      - .offset:         32
        .size:           8
        .value_kind:     by_value
      - .offset:         40
        .size:           8
        .value_kind:     by_value
      - .offset:         48
        .size:           8
        .value_kind:     by_value
      - .actual_access:  read_only
        .address_space:  global
        .offset:         56
        .size:           8
        .value_kind:     global_buffer
      - .offset:         64
        .size:           8
        .value_kind:     by_value
      - .actual_access:  read_only
        .address_space:  global
        .offset:         72
        .size:           8
        .value_kind:     global_buffer
      - .offset:         80
        .size:           8
        .value_kind:     by_value
      - .offset:         88
        .size:           8
        .value_kind:     by_value
      - .address_space:  global
        .offset:         96
        .size:           8
        .value_kind:     global_buffer
      - .actual_access:  read_only
        .address_space:  global
        .offset:         104
        .size:           8
        .value_kind:     global_buffer
      - .offset:         112
        .size:           4
        .value_kind:     by_value
      - .offset:         116
        .size:           1
        .value_kind:     by_value
    .group_segment_fixed_size: 1024
    .kernarg_segment_align: 8
    .kernarg_segment_size: 120
    .language:       OpenCL C
    .language_version:
      - 2
      - 0
    .max_flat_workgroup_size: 512
    .name:           _ZN9rocsparseL16sddmm_ell_kernelILi512ELi1EDF16_llDF16_DF16_DF16_EEv20rocsparse_operation_S1_16rocsparse_order_S2_T3_S3_S3_T2_NS_24const_host_device_scalarIT1_EEPKT4_lPKT5_lS7_PT6_PKS3_21rocsparse_index_base_b
    .private_segment_fixed_size: 0
    .sgpr_count:     20
    .sgpr_spill_count: 0
    .symbol:         _ZN9rocsparseL16sddmm_ell_kernelILi512ELi1EDF16_llDF16_DF16_DF16_EEv20rocsparse_operation_S1_16rocsparse_order_S2_T3_S3_S3_T2_NS_24const_host_device_scalarIT1_EEPKT4_lPKT5_lS7_PT6_PKS3_21rocsparse_index_base_b.kd
    .uniform_work_group_size: 1
    .uses_dynamic_stack: false
    .vgpr_count:     14
    .vgpr_spill_count: 0
    .wavefront_size: 32
    .workgroup_processor_mode: 1
  - .args:
      - .offset:         0
        .size:           8
        .value_kind:     by_value
      - .offset:         8
        .size:           8
        .value_kind:     by_value
      - .actual_access:  read_only
        .address_space:  global
        .offset:         16
        .size:           8
        .value_kind:     global_buffer
      - .offset:         24
        .size:           8
        .value_kind:     by_value
      - .offset:         32
        .size:           8
        .value_kind:     by_value
      - .actual_access:  write_only
        .address_space:  global
        .offset:         40
        .size:           8
        .value_kind:     global_buffer
      - .actual_access:  read_only
        .address_space:  global
        .offset:         48
        .size:           8
        .value_kind:     global_buffer
      - .offset:         56
        .size:           4
        .value_kind:     by_value
    .group_segment_fixed_size: 0
    .kernarg_segment_align: 8
    .kernarg_segment_size: 60
    .language:       OpenCL C
    .language_version:
      - 2
      - 0
    .max_flat_workgroup_size: 512
    .name:           _ZN9rocsparseL23sddmm_ell_sample_kernelILi16ELi32EflfEEvT2_S1_PKT3_lS1_PS2_PKS1_21rocsparse_index_base_
    .private_segment_fixed_size: 0
    .sgpr_count:     18
    .sgpr_spill_count: 0
    .symbol:         _ZN9rocsparseL23sddmm_ell_sample_kernelILi16ELi32EflfEEvT2_S1_PKT3_lS1_PS2_PKS1_21rocsparse_index_base_.kd
    .uniform_work_group_size: 1
    .uses_dynamic_stack: false
    .vgpr_count:     12
    .vgpr_spill_count: 0
    .wavefront_size: 32
    .workgroup_processor_mode: 1
  - .args:
      - .offset:         0
        .size:           8
        .value_kind:     by_value
      - .offset:         8
        .size:           8
        .value_kind:     by_value
      - .actual_access:  read_only
        .address_space:  global
        .offset:         16
        .size:           8
        .value_kind:     global_buffer
      - .offset:         24
        .size:           8
        .value_kind:     by_value
      - .offset:         32
        .size:           8
        .value_kind:     by_value
      - .actual_access:  write_only
        .address_space:  global
        .offset:         40
        .size:           8
        .value_kind:     global_buffer
      - .actual_access:  read_only
        .address_space:  global
        .offset:         48
        .size:           8
        .value_kind:     global_buffer
      - .offset:         56
        .size:           4
        .value_kind:     by_value
    .group_segment_fixed_size: 0
    .kernarg_segment_align: 8
    .kernarg_segment_size: 60
    .language:       OpenCL C
    .language_version:
      - 2
      - 0
    .max_flat_workgroup_size: 1024
    .name:           _ZN9rocsparseL23sddmm_ell_sample_kernelILi16ELi64EflfEEvT2_S1_PKT3_lS1_PS2_PKS1_21rocsparse_index_base_
    .private_segment_fixed_size: 0
    .sgpr_count:     18
    .sgpr_spill_count: 0
    .symbol:         _ZN9rocsparseL23sddmm_ell_sample_kernelILi16ELi64EflfEEvT2_S1_PKT3_lS1_PS2_PKS1_21rocsparse_index_base_.kd
    .uniform_work_group_size: 1
    .uses_dynamic_stack: false
    .vgpr_count:     12
    .vgpr_spill_count: 0
    .wavefront_size: 32
    .workgroup_processor_mode: 1
  - .args:
      - .offset:         0
        .size:           4
        .value_kind:     by_value
      - .offset:         4
        .size:           4
        .value_kind:     by_value
      - .offset:         8
        .size:           4
        .value_kind:     by_value
      - .offset:         12
        .size:           4
        .value_kind:     by_value
      - .offset:         16
        .size:           8
        .value_kind:     by_value
      - .offset:         24
        .size:           8
        .value_kind:     by_value
      - .offset:         32
        .size:           8
        .value_kind:     by_value
      - .offset:         40
        .size:           8
        .value_kind:     by_value
      - .offset:         48
        .size:           8
        .value_kind:     by_value
      - .actual_access:  read_only
        .address_space:  global
        .offset:         56
        .size:           8
        .value_kind:     global_buffer
      - .offset:         64
        .size:           8
        .value_kind:     by_value
      - .actual_access:  read_only
        .address_space:  global
        .offset:         72
        .size:           8
        .value_kind:     global_buffer
      - .offset:         80
        .size:           8
        .value_kind:     by_value
      - .offset:         88
        .size:           8
        .value_kind:     by_value
      - .address_space:  global
        .offset:         96
        .size:           8
        .value_kind:     global_buffer
      - .actual_access:  read_only
        .address_space:  global
        .offset:         104
        .size:           8
        .value_kind:     global_buffer
      - .offset:         112
        .size:           4
        .value_kind:     by_value
      - .offset:         116
        .size:           1
        .value_kind:     by_value
    .group_segment_fixed_size: 2048
    .kernarg_segment_align: 8
    .kernarg_segment_size: 120
    .language:       OpenCL C
    .language_version:
      - 2
      - 0
    .max_flat_workgroup_size: 512
    .name:           _ZN9rocsparseL16sddmm_ell_kernelILi512ELi8EfllfffEEv20rocsparse_operation_S1_16rocsparse_order_S2_T3_S3_S3_T2_NS_24const_host_device_scalarIT1_EEPKT4_lPKT5_lS7_PT6_PKS3_21rocsparse_index_base_b
    .private_segment_fixed_size: 0
    .sgpr_count:     24
    .sgpr_spill_count: 0
    .symbol:         _ZN9rocsparseL16sddmm_ell_kernelILi512ELi8EfllfffEEv20rocsparse_operation_S1_16rocsparse_order_S2_T3_S3_S3_T2_NS_24const_host_device_scalarIT1_EEPKT4_lPKT5_lS7_PT6_PKS3_21rocsparse_index_base_b.kd
    .uniform_work_group_size: 1
    .uses_dynamic_stack: false
    .vgpr_count:     17
    .vgpr_spill_count: 0
    .wavefront_size: 32
    .workgroup_processor_mode: 1
  - .args:
      - .offset:         0
        .size:           4
        .value_kind:     by_value
      - .offset:         4
        .size:           4
        .value_kind:     by_value
      - .offset:         8
        .size:           4
        .value_kind:     by_value
      - .offset:         12
        .size:           4
        .value_kind:     by_value
      - .offset:         16
        .size:           8
        .value_kind:     by_value
      - .offset:         24
        .size:           8
        .value_kind:     by_value
      - .offset:         32
        .size:           8
        .value_kind:     by_value
      - .offset:         40
        .size:           8
        .value_kind:     by_value
      - .offset:         48
        .size:           8
        .value_kind:     by_value
      - .actual_access:  read_only
        .address_space:  global
        .offset:         56
        .size:           8
        .value_kind:     global_buffer
      - .offset:         64
        .size:           8
        .value_kind:     by_value
      - .actual_access:  read_only
        .address_space:  global
        .offset:         72
        .size:           8
        .value_kind:     global_buffer
      - .offset:         80
        .size:           8
        .value_kind:     by_value
      - .offset:         88
        .size:           8
        .value_kind:     by_value
      - .address_space:  global
        .offset:         96
        .size:           8
        .value_kind:     global_buffer
      - .actual_access:  read_only
        .address_space:  global
        .offset:         104
        .size:           8
        .value_kind:     global_buffer
      - .offset:         112
        .size:           4
        .value_kind:     by_value
      - .offset:         116
        .size:           1
        .value_kind:     by_value
    .group_segment_fixed_size: 2048
    .kernarg_segment_align: 8
    .kernarg_segment_size: 120
    .language:       OpenCL C
    .language_version:
      - 2
      - 0
    .max_flat_workgroup_size: 512
    .name:           _ZN9rocsparseL16sddmm_ell_kernelILi512ELi4EfllfffEEv20rocsparse_operation_S1_16rocsparse_order_S2_T3_S3_S3_T2_NS_24const_host_device_scalarIT1_EEPKT4_lPKT5_lS7_PT6_PKS3_21rocsparse_index_base_b
    .private_segment_fixed_size: 0
    .sgpr_count:     24
    .sgpr_spill_count: 0
    .symbol:         _ZN9rocsparseL16sddmm_ell_kernelILi512ELi4EfllfffEEv20rocsparse_operation_S1_16rocsparse_order_S2_T3_S3_S3_T2_NS_24const_host_device_scalarIT1_EEPKT4_lPKT5_lS7_PT6_PKS3_21rocsparse_index_base_b.kd
    .uniform_work_group_size: 1
    .uses_dynamic_stack: false
    .vgpr_count:     17
    .vgpr_spill_count: 0
    .wavefront_size: 32
    .workgroup_processor_mode: 1
  - .args:
      - .offset:         0
        .size:           4
        .value_kind:     by_value
      - .offset:         4
        .size:           4
        .value_kind:     by_value
      - .offset:         8
        .size:           4
        .value_kind:     by_value
      - .offset:         12
        .size:           4
        .value_kind:     by_value
      - .offset:         16
        .size:           8
        .value_kind:     by_value
      - .offset:         24
        .size:           8
        .value_kind:     by_value
      - .offset:         32
        .size:           8
        .value_kind:     by_value
      - .offset:         40
        .size:           8
        .value_kind:     by_value
      - .offset:         48
        .size:           8
        .value_kind:     by_value
      - .actual_access:  read_only
        .address_space:  global
        .offset:         56
        .size:           8
        .value_kind:     global_buffer
      - .offset:         64
        .size:           8
        .value_kind:     by_value
      - .actual_access:  read_only
        .address_space:  global
        .offset:         72
        .size:           8
        .value_kind:     global_buffer
      - .offset:         80
        .size:           8
        .value_kind:     by_value
      - .offset:         88
        .size:           8
        .value_kind:     by_value
      - .address_space:  global
        .offset:         96
        .size:           8
        .value_kind:     global_buffer
      - .actual_access:  read_only
        .address_space:  global
        .offset:         104
        .size:           8
        .value_kind:     global_buffer
      - .offset:         112
        .size:           4
        .value_kind:     by_value
      - .offset:         116
        .size:           1
        .value_kind:     by_value
    .group_segment_fixed_size: 2048
    .kernarg_segment_align: 8
    .kernarg_segment_size: 120
    .language:       OpenCL C
    .language_version:
      - 2
      - 0
    .max_flat_workgroup_size: 512
    .name:           _ZN9rocsparseL16sddmm_ell_kernelILi512ELi2EfllfffEEv20rocsparse_operation_S1_16rocsparse_order_S2_T3_S3_S3_T2_NS_24const_host_device_scalarIT1_EEPKT4_lPKT5_lS7_PT6_PKS3_21rocsparse_index_base_b
    .private_segment_fixed_size: 0
    .sgpr_count:     24
    .sgpr_spill_count: 0
    .symbol:         _ZN9rocsparseL16sddmm_ell_kernelILi512ELi2EfllfffEEv20rocsparse_operation_S1_16rocsparse_order_S2_T3_S3_S3_T2_NS_24const_host_device_scalarIT1_EEPKT4_lPKT5_lS7_PT6_PKS3_21rocsparse_index_base_b.kd
    .uniform_work_group_size: 1
    .uses_dynamic_stack: false
    .vgpr_count:     16
    .vgpr_spill_count: 0
    .wavefront_size: 32
    .workgroup_processor_mode: 1
  - .args:
      - .offset:         0
        .size:           4
        .value_kind:     by_value
      - .offset:         4
        .size:           4
        .value_kind:     by_value
      - .offset:         8
        .size:           4
        .value_kind:     by_value
      - .offset:         12
        .size:           4
        .value_kind:     by_value
      - .offset:         16
        .size:           8
        .value_kind:     by_value
      - .offset:         24
        .size:           8
        .value_kind:     by_value
      - .offset:         32
        .size:           8
        .value_kind:     by_value
      - .offset:         40
        .size:           8
        .value_kind:     by_value
      - .offset:         48
        .size:           8
        .value_kind:     by_value
      - .actual_access:  read_only
        .address_space:  global
        .offset:         56
        .size:           8
        .value_kind:     global_buffer
      - .offset:         64
        .size:           8
        .value_kind:     by_value
      - .actual_access:  read_only
        .address_space:  global
        .offset:         72
        .size:           8
        .value_kind:     global_buffer
      - .offset:         80
        .size:           8
        .value_kind:     by_value
      - .offset:         88
        .size:           8
        .value_kind:     by_value
      - .address_space:  global
        .offset:         96
        .size:           8
        .value_kind:     global_buffer
      - .actual_access:  read_only
        .address_space:  global
        .offset:         104
        .size:           8
        .value_kind:     global_buffer
      - .offset:         112
        .size:           4
        .value_kind:     by_value
      - .offset:         116
        .size:           1
        .value_kind:     by_value
    .group_segment_fixed_size: 2048
    .kernarg_segment_align: 8
    .kernarg_segment_size: 120
    .language:       OpenCL C
    .language_version:
      - 2
      - 0
    .max_flat_workgroup_size: 512
    .name:           _ZN9rocsparseL16sddmm_ell_kernelILi512ELi1EfllfffEEv20rocsparse_operation_S1_16rocsparse_order_S2_T3_S3_S3_T2_NS_24const_host_device_scalarIT1_EEPKT4_lPKT5_lS7_PT6_PKS3_21rocsparse_index_base_b
    .private_segment_fixed_size: 0
    .sgpr_count:     24
    .sgpr_spill_count: 0
    .symbol:         _ZN9rocsparseL16sddmm_ell_kernelILi512ELi1EfllfffEEv20rocsparse_operation_S1_16rocsparse_order_S2_T3_S3_S3_T2_NS_24const_host_device_scalarIT1_EEPKT4_lPKT5_lS7_PT6_PKS3_21rocsparse_index_base_b.kd
    .uniform_work_group_size: 1
    .uses_dynamic_stack: false
    .vgpr_count:     12
    .vgpr_spill_count: 0
    .wavefront_size: 32
    .workgroup_processor_mode: 1
  - .args:
      - .offset:         0
        .size:           8
        .value_kind:     by_value
      - .offset:         8
        .size:           8
        .value_kind:     by_value
      - .actual_access:  read_only
        .address_space:  global
        .offset:         16
        .size:           8
        .value_kind:     global_buffer
      - .offset:         24
        .size:           8
        .value_kind:     by_value
      - .offset:         32
        .size:           8
        .value_kind:     by_value
      - .actual_access:  write_only
        .address_space:  global
        .offset:         40
        .size:           8
        .value_kind:     global_buffer
      - .actual_access:  read_only
        .address_space:  global
        .offset:         48
        .size:           8
        .value_kind:     global_buffer
      - .offset:         56
        .size:           4
        .value_kind:     by_value
    .group_segment_fixed_size: 0
    .kernarg_segment_align: 8
    .kernarg_segment_size: 60
    .language:       OpenCL C
    .language_version:
      - 2
      - 0
    .max_flat_workgroup_size: 512
    .name:           _ZN9rocsparseL23sddmm_ell_sample_kernelILi16ELi32EdldEEvT2_S1_PKT3_lS1_PS2_PKS1_21rocsparse_index_base_
    .private_segment_fixed_size: 0
    .sgpr_count:     18
    .sgpr_spill_count: 0
    .symbol:         _ZN9rocsparseL23sddmm_ell_sample_kernelILi16ELi32EdldEEvT2_S1_PKT3_lS1_PS2_PKS1_21rocsparse_index_base_.kd
    .uniform_work_group_size: 1
    .uses_dynamic_stack: false
    .vgpr_count:     12
    .vgpr_spill_count: 0
    .wavefront_size: 32
    .workgroup_processor_mode: 1
  - .args:
      - .offset:         0
        .size:           8
        .value_kind:     by_value
      - .offset:         8
        .size:           8
        .value_kind:     by_value
      - .actual_access:  read_only
        .address_space:  global
        .offset:         16
        .size:           8
        .value_kind:     global_buffer
      - .offset:         24
        .size:           8
        .value_kind:     by_value
      - .offset:         32
        .size:           8
        .value_kind:     by_value
      - .actual_access:  write_only
        .address_space:  global
        .offset:         40
        .size:           8
        .value_kind:     global_buffer
      - .actual_access:  read_only
        .address_space:  global
        .offset:         48
        .size:           8
        .value_kind:     global_buffer
      - .offset:         56
        .size:           4
        .value_kind:     by_value
    .group_segment_fixed_size: 0
    .kernarg_segment_align: 8
    .kernarg_segment_size: 60
    .language:       OpenCL C
    .language_version:
      - 2
      - 0
    .max_flat_workgroup_size: 1024
    .name:           _ZN9rocsparseL23sddmm_ell_sample_kernelILi16ELi64EdldEEvT2_S1_PKT3_lS1_PS2_PKS1_21rocsparse_index_base_
    .private_segment_fixed_size: 0
    .sgpr_count:     18
    .sgpr_spill_count: 0
    .symbol:         _ZN9rocsparseL23sddmm_ell_sample_kernelILi16ELi64EdldEEvT2_S1_PKT3_lS1_PS2_PKS1_21rocsparse_index_base_.kd
    .uniform_work_group_size: 1
    .uses_dynamic_stack: false
    .vgpr_count:     12
    .vgpr_spill_count: 0
    .wavefront_size: 32
    .workgroup_processor_mode: 1
  - .args:
      - .offset:         0
        .size:           4
        .value_kind:     by_value
      - .offset:         4
        .size:           4
        .value_kind:     by_value
      - .offset:         8
        .size:           4
        .value_kind:     by_value
      - .offset:         12
        .size:           4
        .value_kind:     by_value
      - .offset:         16
        .size:           8
        .value_kind:     by_value
      - .offset:         24
        .size:           8
        .value_kind:     by_value
      - .offset:         32
        .size:           8
        .value_kind:     by_value
      - .offset:         40
        .size:           8
        .value_kind:     by_value
      - .offset:         48
        .size:           8
        .value_kind:     by_value
      - .actual_access:  read_only
        .address_space:  global
        .offset:         56
        .size:           8
        .value_kind:     global_buffer
      - .offset:         64
        .size:           8
        .value_kind:     by_value
      - .actual_access:  read_only
        .address_space:  global
        .offset:         72
        .size:           8
        .value_kind:     global_buffer
      - .offset:         80
        .size:           8
        .value_kind:     by_value
      - .offset:         88
        .size:           8
        .value_kind:     by_value
      - .address_space:  global
        .offset:         96
        .size:           8
        .value_kind:     global_buffer
      - .actual_access:  read_only
        .address_space:  global
        .offset:         104
        .size:           8
        .value_kind:     global_buffer
      - .offset:         112
        .size:           4
        .value_kind:     by_value
      - .offset:         116
        .size:           1
        .value_kind:     by_value
    .group_segment_fixed_size: 4096
    .kernarg_segment_align: 8
    .kernarg_segment_size: 120
    .language:       OpenCL C
    .language_version:
      - 2
      - 0
    .max_flat_workgroup_size: 512
    .name:           _ZN9rocsparseL16sddmm_ell_kernelILi512ELi8EdlldddEEv20rocsparse_operation_S1_16rocsparse_order_S2_T3_S3_S3_T2_NS_24const_host_device_scalarIT1_EEPKT4_lPKT5_lS7_PT6_PKS3_21rocsparse_index_base_b
    .private_segment_fixed_size: 0
    .sgpr_count:     20
    .sgpr_spill_count: 0
    .symbol:         _ZN9rocsparseL16sddmm_ell_kernelILi512ELi8EdlldddEEv20rocsparse_operation_S1_16rocsparse_order_S2_T3_S3_S3_T2_NS_24const_host_device_scalarIT1_EEPKT4_lPKT5_lS7_PT6_PKS3_21rocsparse_index_base_b.kd
    .uniform_work_group_size: 1
    .uses_dynamic_stack: false
    .vgpr_count:     22
    .vgpr_spill_count: 0
    .wavefront_size: 32
    .workgroup_processor_mode: 1
  - .args:
      - .offset:         0
        .size:           4
        .value_kind:     by_value
      - .offset:         4
        .size:           4
        .value_kind:     by_value
      - .offset:         8
        .size:           4
        .value_kind:     by_value
      - .offset:         12
        .size:           4
        .value_kind:     by_value
      - .offset:         16
        .size:           8
        .value_kind:     by_value
      - .offset:         24
        .size:           8
        .value_kind:     by_value
      - .offset:         32
        .size:           8
        .value_kind:     by_value
      - .offset:         40
        .size:           8
        .value_kind:     by_value
      - .offset:         48
        .size:           8
        .value_kind:     by_value
      - .actual_access:  read_only
        .address_space:  global
        .offset:         56
        .size:           8
        .value_kind:     global_buffer
      - .offset:         64
        .size:           8
        .value_kind:     by_value
      - .actual_access:  read_only
        .address_space:  global
        .offset:         72
        .size:           8
        .value_kind:     global_buffer
      - .offset:         80
        .size:           8
        .value_kind:     by_value
      - .offset:         88
        .size:           8
        .value_kind:     by_value
      - .address_space:  global
        .offset:         96
        .size:           8
        .value_kind:     global_buffer
      - .actual_access:  read_only
        .address_space:  global
        .offset:         104
        .size:           8
        .value_kind:     global_buffer
      - .offset:         112
        .size:           4
        .value_kind:     by_value
      - .offset:         116
        .size:           1
        .value_kind:     by_value
    .group_segment_fixed_size: 4096
    .kernarg_segment_align: 8
    .kernarg_segment_size: 120
    .language:       OpenCL C
    .language_version:
      - 2
      - 0
    .max_flat_workgroup_size: 512
    .name:           _ZN9rocsparseL16sddmm_ell_kernelILi512ELi4EdlldddEEv20rocsparse_operation_S1_16rocsparse_order_S2_T3_S3_S3_T2_NS_24const_host_device_scalarIT1_EEPKT4_lPKT5_lS7_PT6_PKS3_21rocsparse_index_base_b
    .private_segment_fixed_size: 0
    .sgpr_count:     20
    .sgpr_spill_count: 0
    .symbol:         _ZN9rocsparseL16sddmm_ell_kernelILi512ELi4EdlldddEEv20rocsparse_operation_S1_16rocsparse_order_S2_T3_S3_S3_T2_NS_24const_host_device_scalarIT1_EEPKT4_lPKT5_lS7_PT6_PKS3_21rocsparse_index_base_b.kd
    .uniform_work_group_size: 1
    .uses_dynamic_stack: false
    .vgpr_count:     22
    .vgpr_spill_count: 0
    .wavefront_size: 32
    .workgroup_processor_mode: 1
  - .args:
      - .offset:         0
        .size:           4
        .value_kind:     by_value
      - .offset:         4
        .size:           4
        .value_kind:     by_value
      - .offset:         8
        .size:           4
        .value_kind:     by_value
      - .offset:         12
        .size:           4
        .value_kind:     by_value
      - .offset:         16
        .size:           8
        .value_kind:     by_value
      - .offset:         24
        .size:           8
        .value_kind:     by_value
      - .offset:         32
        .size:           8
        .value_kind:     by_value
      - .offset:         40
        .size:           8
        .value_kind:     by_value
      - .offset:         48
        .size:           8
        .value_kind:     by_value
      - .actual_access:  read_only
        .address_space:  global
        .offset:         56
        .size:           8
        .value_kind:     global_buffer
      - .offset:         64
        .size:           8
        .value_kind:     by_value
      - .actual_access:  read_only
        .address_space:  global
        .offset:         72
        .size:           8
        .value_kind:     global_buffer
      - .offset:         80
        .size:           8
        .value_kind:     by_value
      - .offset:         88
        .size:           8
        .value_kind:     by_value
      - .address_space:  global
        .offset:         96
        .size:           8
        .value_kind:     global_buffer
      - .actual_access:  read_only
        .address_space:  global
        .offset:         104
        .size:           8
        .value_kind:     global_buffer
      - .offset:         112
        .size:           4
        .value_kind:     by_value
      - .offset:         116
        .size:           1
        .value_kind:     by_value
    .group_segment_fixed_size: 4096
    .kernarg_segment_align: 8
    .kernarg_segment_size: 120
    .language:       OpenCL C
    .language_version:
      - 2
      - 0
    .max_flat_workgroup_size: 512
    .name:           _ZN9rocsparseL16sddmm_ell_kernelILi512ELi2EdlldddEEv20rocsparse_operation_S1_16rocsparse_order_S2_T3_S3_S3_T2_NS_24const_host_device_scalarIT1_EEPKT4_lPKT5_lS7_PT6_PKS3_21rocsparse_index_base_b
    .private_segment_fixed_size: 0
    .sgpr_count:     20
    .sgpr_spill_count: 0
    .symbol:         _ZN9rocsparseL16sddmm_ell_kernelILi512ELi2EdlldddEEv20rocsparse_operation_S1_16rocsparse_order_S2_T3_S3_S3_T2_NS_24const_host_device_scalarIT1_EEPKT4_lPKT5_lS7_PT6_PKS3_21rocsparse_index_base_b.kd
    .uniform_work_group_size: 1
    .uses_dynamic_stack: false
    .vgpr_count:     22
    .vgpr_spill_count: 0
    .wavefront_size: 32
    .workgroup_processor_mode: 1
  - .args:
      - .offset:         0
        .size:           4
        .value_kind:     by_value
      - .offset:         4
        .size:           4
        .value_kind:     by_value
      - .offset:         8
        .size:           4
        .value_kind:     by_value
      - .offset:         12
        .size:           4
        .value_kind:     by_value
      - .offset:         16
        .size:           8
        .value_kind:     by_value
      - .offset:         24
        .size:           8
        .value_kind:     by_value
      - .offset:         32
        .size:           8
        .value_kind:     by_value
      - .offset:         40
        .size:           8
        .value_kind:     by_value
      - .offset:         48
        .size:           8
        .value_kind:     by_value
      - .actual_access:  read_only
        .address_space:  global
        .offset:         56
        .size:           8
        .value_kind:     global_buffer
      - .offset:         64
        .size:           8
        .value_kind:     by_value
      - .actual_access:  read_only
        .address_space:  global
        .offset:         72
        .size:           8
        .value_kind:     global_buffer
      - .offset:         80
        .size:           8
        .value_kind:     by_value
      - .offset:         88
        .size:           8
        .value_kind:     by_value
      - .address_space:  global
        .offset:         96
        .size:           8
        .value_kind:     global_buffer
      - .actual_access:  read_only
        .address_space:  global
        .offset:         104
        .size:           8
        .value_kind:     global_buffer
      - .offset:         112
        .size:           4
        .value_kind:     by_value
      - .offset:         116
        .size:           1
        .value_kind:     by_value
    .group_segment_fixed_size: 4096
    .kernarg_segment_align: 8
    .kernarg_segment_size: 120
    .language:       OpenCL C
    .language_version:
      - 2
      - 0
    .max_flat_workgroup_size: 512
    .name:           _ZN9rocsparseL16sddmm_ell_kernelILi512ELi1EdlldddEEv20rocsparse_operation_S1_16rocsparse_order_S2_T3_S3_S3_T2_NS_24const_host_device_scalarIT1_EEPKT4_lPKT5_lS7_PT6_PKS3_21rocsparse_index_base_b
    .private_segment_fixed_size: 0
    .sgpr_count:     20
    .sgpr_spill_count: 0
    .symbol:         _ZN9rocsparseL16sddmm_ell_kernelILi512ELi1EdlldddEEv20rocsparse_operation_S1_16rocsparse_order_S2_T3_S3_S3_T2_NS_24const_host_device_scalarIT1_EEPKT4_lPKT5_lS7_PT6_PKS3_21rocsparse_index_base_b.kd
    .uniform_work_group_size: 1
    .uses_dynamic_stack: false
    .vgpr_count:     17
    .vgpr_spill_count: 0
    .wavefront_size: 32
    .workgroup_processor_mode: 1
  - .args:
      - .offset:         0
        .size:           8
        .value_kind:     by_value
      - .offset:         8
        .size:           8
        .value_kind:     by_value
      - .actual_access:  read_only
        .address_space:  global
        .offset:         16
        .size:           8
        .value_kind:     global_buffer
      - .offset:         24
        .size:           8
        .value_kind:     by_value
      - .offset:         32
        .size:           8
        .value_kind:     by_value
      - .actual_access:  write_only
        .address_space:  global
        .offset:         40
        .size:           8
        .value_kind:     global_buffer
      - .actual_access:  read_only
        .address_space:  global
        .offset:         48
        .size:           8
        .value_kind:     global_buffer
      - .offset:         56
        .size:           4
        .value_kind:     by_value
    .group_segment_fixed_size: 0
    .kernarg_segment_align: 8
    .kernarg_segment_size: 60
    .language:       OpenCL C
    .language_version:
      - 2
      - 0
    .max_flat_workgroup_size: 512
    .name:           _ZN9rocsparseL23sddmm_ell_sample_kernelILi16ELi32E21rocsparse_complex_numIfElS2_EEvT2_S3_PKT3_lS3_PS4_PKS3_21rocsparse_index_base_
    .private_segment_fixed_size: 0
    .sgpr_count:     18
    .sgpr_spill_count: 0
    .symbol:         _ZN9rocsparseL23sddmm_ell_sample_kernelILi16ELi32E21rocsparse_complex_numIfElS2_EEvT2_S3_PKT3_lS3_PS4_PKS3_21rocsparse_index_base_.kd
    .uniform_work_group_size: 1
    .uses_dynamic_stack: false
    .vgpr_count:     12
    .vgpr_spill_count: 0
    .wavefront_size: 32
    .workgroup_processor_mode: 1
  - .args:
      - .offset:         0
        .size:           8
        .value_kind:     by_value
      - .offset:         8
        .size:           8
        .value_kind:     by_value
      - .actual_access:  read_only
        .address_space:  global
        .offset:         16
        .size:           8
        .value_kind:     global_buffer
      - .offset:         24
        .size:           8
        .value_kind:     by_value
      - .offset:         32
        .size:           8
        .value_kind:     by_value
      - .actual_access:  write_only
        .address_space:  global
        .offset:         40
        .size:           8
        .value_kind:     global_buffer
      - .actual_access:  read_only
        .address_space:  global
        .offset:         48
        .size:           8
        .value_kind:     global_buffer
      - .offset:         56
        .size:           4
        .value_kind:     by_value
    .group_segment_fixed_size: 0
    .kernarg_segment_align: 8
    .kernarg_segment_size: 60
    .language:       OpenCL C
    .language_version:
      - 2
      - 0
    .max_flat_workgroup_size: 1024
    .name:           _ZN9rocsparseL23sddmm_ell_sample_kernelILi16ELi64E21rocsparse_complex_numIfElS2_EEvT2_S3_PKT3_lS3_PS4_PKS3_21rocsparse_index_base_
    .private_segment_fixed_size: 0
    .sgpr_count:     18
    .sgpr_spill_count: 0
    .symbol:         _ZN9rocsparseL23sddmm_ell_sample_kernelILi16ELi64E21rocsparse_complex_numIfElS2_EEvT2_S3_PKT3_lS3_PS4_PKS3_21rocsparse_index_base_.kd
    .uniform_work_group_size: 1
    .uses_dynamic_stack: false
    .vgpr_count:     12
    .vgpr_spill_count: 0
    .wavefront_size: 32
    .workgroup_processor_mode: 1
  - .args:
      - .offset:         0
        .size:           4
        .value_kind:     by_value
      - .offset:         4
        .size:           4
        .value_kind:     by_value
      - .offset:         8
        .size:           4
        .value_kind:     by_value
      - .offset:         12
        .size:           4
        .value_kind:     by_value
      - .offset:         16
        .size:           8
        .value_kind:     by_value
      - .offset:         24
        .size:           8
        .value_kind:     by_value
      - .offset:         32
        .size:           8
        .value_kind:     by_value
      - .offset:         40
        .size:           8
        .value_kind:     by_value
      - .offset:         48
        .size:           8
        .value_kind:     by_value
      - .actual_access:  read_only
        .address_space:  global
        .offset:         56
        .size:           8
        .value_kind:     global_buffer
      - .offset:         64
        .size:           8
        .value_kind:     by_value
      - .actual_access:  read_only
        .address_space:  global
        .offset:         72
        .size:           8
        .value_kind:     global_buffer
      - .offset:         80
        .size:           8
        .value_kind:     by_value
      - .offset:         88
        .size:           8
        .value_kind:     by_value
      - .address_space:  global
        .offset:         96
        .size:           8
        .value_kind:     global_buffer
      - .actual_access:  read_only
        .address_space:  global
        .offset:         104
        .size:           8
        .value_kind:     global_buffer
      - .offset:         112
        .size:           4
        .value_kind:     by_value
      - .offset:         116
        .size:           1
        .value_kind:     by_value
    .group_segment_fixed_size: 4096
    .kernarg_segment_align: 8
    .kernarg_segment_size: 120
    .language:       OpenCL C
    .language_version:
      - 2
      - 0
    .max_flat_workgroup_size: 512
    .name:           _ZN9rocsparseL16sddmm_ell_kernelILi512ELi8E21rocsparse_complex_numIfEllS2_S2_S2_EEv20rocsparse_operation_S3_16rocsparse_order_S4_T3_S5_S5_T2_NS_24const_host_device_scalarIT1_EEPKT4_lPKT5_lS9_PT6_PKS5_21rocsparse_index_base_b
    .private_segment_fixed_size: 0
    .sgpr_count:     20
    .sgpr_spill_count: 0
    .symbol:         _ZN9rocsparseL16sddmm_ell_kernelILi512ELi8E21rocsparse_complex_numIfEllS2_S2_S2_EEv20rocsparse_operation_S3_16rocsparse_order_S4_T3_S5_S5_T2_NS_24const_host_device_scalarIT1_EEPKT4_lPKT5_lS9_PT6_PKS5_21rocsparse_index_base_b.kd
    .uniform_work_group_size: 1
    .uses_dynamic_stack: false
    .vgpr_count:     21
    .vgpr_spill_count: 0
    .wavefront_size: 32
    .workgroup_processor_mode: 1
  - .args:
      - .offset:         0
        .size:           4
        .value_kind:     by_value
      - .offset:         4
        .size:           4
        .value_kind:     by_value
      - .offset:         8
        .size:           4
        .value_kind:     by_value
      - .offset:         12
        .size:           4
        .value_kind:     by_value
      - .offset:         16
        .size:           8
        .value_kind:     by_value
      - .offset:         24
        .size:           8
        .value_kind:     by_value
      - .offset:         32
        .size:           8
        .value_kind:     by_value
      - .offset:         40
        .size:           8
        .value_kind:     by_value
      - .offset:         48
        .size:           8
        .value_kind:     by_value
      - .actual_access:  read_only
        .address_space:  global
        .offset:         56
        .size:           8
        .value_kind:     global_buffer
      - .offset:         64
        .size:           8
        .value_kind:     by_value
      - .actual_access:  read_only
        .address_space:  global
        .offset:         72
        .size:           8
        .value_kind:     global_buffer
      - .offset:         80
        .size:           8
        .value_kind:     by_value
      - .offset:         88
        .size:           8
        .value_kind:     by_value
      - .address_space:  global
        .offset:         96
        .size:           8
        .value_kind:     global_buffer
      - .actual_access:  read_only
        .address_space:  global
        .offset:         104
        .size:           8
        .value_kind:     global_buffer
      - .offset:         112
        .size:           4
        .value_kind:     by_value
      - .offset:         116
        .size:           1
        .value_kind:     by_value
    .group_segment_fixed_size: 4096
    .kernarg_segment_align: 8
    .kernarg_segment_size: 120
    .language:       OpenCL C
    .language_version:
      - 2
      - 0
    .max_flat_workgroup_size: 512
    .name:           _ZN9rocsparseL16sddmm_ell_kernelILi512ELi4E21rocsparse_complex_numIfEllS2_S2_S2_EEv20rocsparse_operation_S3_16rocsparse_order_S4_T3_S5_S5_T2_NS_24const_host_device_scalarIT1_EEPKT4_lPKT5_lS9_PT6_PKS5_21rocsparse_index_base_b
    .private_segment_fixed_size: 0
    .sgpr_count:     20
    .sgpr_spill_count: 0
    .symbol:         _ZN9rocsparseL16sddmm_ell_kernelILi512ELi4E21rocsparse_complex_numIfEllS2_S2_S2_EEv20rocsparse_operation_S3_16rocsparse_order_S4_T3_S5_S5_T2_NS_24const_host_device_scalarIT1_EEPKT4_lPKT5_lS9_PT6_PKS5_21rocsparse_index_base_b.kd
    .uniform_work_group_size: 1
    .uses_dynamic_stack: false
    .vgpr_count:     21
    .vgpr_spill_count: 0
    .wavefront_size: 32
    .workgroup_processor_mode: 1
  - .args:
      - .offset:         0
        .size:           4
        .value_kind:     by_value
      - .offset:         4
        .size:           4
        .value_kind:     by_value
      - .offset:         8
        .size:           4
        .value_kind:     by_value
      - .offset:         12
        .size:           4
        .value_kind:     by_value
      - .offset:         16
        .size:           8
        .value_kind:     by_value
      - .offset:         24
        .size:           8
        .value_kind:     by_value
      - .offset:         32
        .size:           8
        .value_kind:     by_value
      - .offset:         40
        .size:           8
        .value_kind:     by_value
      - .offset:         48
        .size:           8
        .value_kind:     by_value
      - .actual_access:  read_only
        .address_space:  global
        .offset:         56
        .size:           8
        .value_kind:     global_buffer
      - .offset:         64
        .size:           8
        .value_kind:     by_value
      - .actual_access:  read_only
        .address_space:  global
        .offset:         72
        .size:           8
        .value_kind:     global_buffer
      - .offset:         80
        .size:           8
        .value_kind:     by_value
      - .offset:         88
        .size:           8
        .value_kind:     by_value
      - .address_space:  global
        .offset:         96
        .size:           8
        .value_kind:     global_buffer
      - .actual_access:  read_only
        .address_space:  global
        .offset:         104
        .size:           8
        .value_kind:     global_buffer
      - .offset:         112
        .size:           4
        .value_kind:     by_value
      - .offset:         116
        .size:           1
        .value_kind:     by_value
    .group_segment_fixed_size: 4096
    .kernarg_segment_align: 8
    .kernarg_segment_size: 120
    .language:       OpenCL C
    .language_version:
      - 2
      - 0
    .max_flat_workgroup_size: 512
    .name:           _ZN9rocsparseL16sddmm_ell_kernelILi512ELi2E21rocsparse_complex_numIfEllS2_S2_S2_EEv20rocsparse_operation_S3_16rocsparse_order_S4_T3_S5_S5_T2_NS_24const_host_device_scalarIT1_EEPKT4_lPKT5_lS9_PT6_PKS5_21rocsparse_index_base_b
    .private_segment_fixed_size: 0
    .sgpr_count:     20
    .sgpr_spill_count: 0
    .symbol:         _ZN9rocsparseL16sddmm_ell_kernelILi512ELi2E21rocsparse_complex_numIfEllS2_S2_S2_EEv20rocsparse_operation_S3_16rocsparse_order_S4_T3_S5_S5_T2_NS_24const_host_device_scalarIT1_EEPKT4_lPKT5_lS9_PT6_PKS5_21rocsparse_index_base_b.kd
    .uniform_work_group_size: 1
    .uses_dynamic_stack: false
    .vgpr_count:     21
    .vgpr_spill_count: 0
    .wavefront_size: 32
    .workgroup_processor_mode: 1
  - .args:
      - .offset:         0
        .size:           4
        .value_kind:     by_value
      - .offset:         4
        .size:           4
        .value_kind:     by_value
      - .offset:         8
        .size:           4
        .value_kind:     by_value
      - .offset:         12
        .size:           4
        .value_kind:     by_value
      - .offset:         16
        .size:           8
        .value_kind:     by_value
      - .offset:         24
        .size:           8
        .value_kind:     by_value
      - .offset:         32
        .size:           8
        .value_kind:     by_value
      - .offset:         40
        .size:           8
        .value_kind:     by_value
      - .offset:         48
        .size:           8
        .value_kind:     by_value
      - .actual_access:  read_only
        .address_space:  global
        .offset:         56
        .size:           8
        .value_kind:     global_buffer
      - .offset:         64
        .size:           8
        .value_kind:     by_value
      - .actual_access:  read_only
        .address_space:  global
        .offset:         72
        .size:           8
        .value_kind:     global_buffer
      - .offset:         80
        .size:           8
        .value_kind:     by_value
      - .offset:         88
        .size:           8
        .value_kind:     by_value
      - .address_space:  global
        .offset:         96
        .size:           8
        .value_kind:     global_buffer
      - .actual_access:  read_only
        .address_space:  global
        .offset:         104
        .size:           8
        .value_kind:     global_buffer
      - .offset:         112
        .size:           4
        .value_kind:     by_value
      - .offset:         116
        .size:           1
        .value_kind:     by_value
    .group_segment_fixed_size: 4096
    .kernarg_segment_align: 8
    .kernarg_segment_size: 120
    .language:       OpenCL C
    .language_version:
      - 2
      - 0
    .max_flat_workgroup_size: 512
    .name:           _ZN9rocsparseL16sddmm_ell_kernelILi512ELi1E21rocsparse_complex_numIfEllS2_S2_S2_EEv20rocsparse_operation_S3_16rocsparse_order_S4_T3_S5_S5_T2_NS_24const_host_device_scalarIT1_EEPKT4_lPKT5_lS9_PT6_PKS5_21rocsparse_index_base_b
    .private_segment_fixed_size: 0
    .sgpr_count:     20
    .sgpr_spill_count: 0
    .symbol:         _ZN9rocsparseL16sddmm_ell_kernelILi512ELi1E21rocsparse_complex_numIfEllS2_S2_S2_EEv20rocsparse_operation_S3_16rocsparse_order_S4_T3_S5_S5_T2_NS_24const_host_device_scalarIT1_EEPKT4_lPKT5_lS9_PT6_PKS5_21rocsparse_index_base_b.kd
    .uniform_work_group_size: 1
    .uses_dynamic_stack: false
    .vgpr_count:     18
    .vgpr_spill_count: 0
    .wavefront_size: 32
    .workgroup_processor_mode: 1
  - .args:
      - .offset:         0
        .size:           8
        .value_kind:     by_value
      - .offset:         8
        .size:           8
        .value_kind:     by_value
      - .actual_access:  read_only
        .address_space:  global
        .offset:         16
        .size:           8
        .value_kind:     global_buffer
      - .offset:         24
        .size:           8
        .value_kind:     by_value
      - .offset:         32
        .size:           8
        .value_kind:     by_value
      - .actual_access:  write_only
        .address_space:  global
        .offset:         40
        .size:           8
        .value_kind:     global_buffer
      - .actual_access:  read_only
        .address_space:  global
        .offset:         48
        .size:           8
        .value_kind:     global_buffer
      - .offset:         56
        .size:           4
        .value_kind:     by_value
    .group_segment_fixed_size: 0
    .kernarg_segment_align: 8
    .kernarg_segment_size: 60
    .language:       OpenCL C
    .language_version:
      - 2
      - 0
    .max_flat_workgroup_size: 512
    .name:           _ZN9rocsparseL23sddmm_ell_sample_kernelILi16ELi32E21rocsparse_complex_numIdElS2_EEvT2_S3_PKT3_lS3_PS4_PKS3_21rocsparse_index_base_
    .private_segment_fixed_size: 0
    .sgpr_count:     18
    .sgpr_spill_count: 0
    .symbol:         _ZN9rocsparseL23sddmm_ell_sample_kernelILi16ELi32E21rocsparse_complex_numIdElS2_EEvT2_S3_PKT3_lS3_PS4_PKS3_21rocsparse_index_base_.kd
    .uniform_work_group_size: 1
    .uses_dynamic_stack: false
    .vgpr_count:     12
    .vgpr_spill_count: 0
    .wavefront_size: 32
    .workgroup_processor_mode: 1
  - .args:
      - .offset:         0
        .size:           8
        .value_kind:     by_value
      - .offset:         8
        .size:           8
        .value_kind:     by_value
      - .actual_access:  read_only
        .address_space:  global
        .offset:         16
        .size:           8
        .value_kind:     global_buffer
      - .offset:         24
        .size:           8
        .value_kind:     by_value
      - .offset:         32
        .size:           8
        .value_kind:     by_value
      - .actual_access:  write_only
        .address_space:  global
        .offset:         40
        .size:           8
        .value_kind:     global_buffer
      - .actual_access:  read_only
        .address_space:  global
        .offset:         48
        .size:           8
        .value_kind:     global_buffer
      - .offset:         56
        .size:           4
        .value_kind:     by_value
    .group_segment_fixed_size: 0
    .kernarg_segment_align: 8
    .kernarg_segment_size: 60
    .language:       OpenCL C
    .language_version:
      - 2
      - 0
    .max_flat_workgroup_size: 1024
    .name:           _ZN9rocsparseL23sddmm_ell_sample_kernelILi16ELi64E21rocsparse_complex_numIdElS2_EEvT2_S3_PKT3_lS3_PS4_PKS3_21rocsparse_index_base_
    .private_segment_fixed_size: 0
    .sgpr_count:     18
    .sgpr_spill_count: 0
    .symbol:         _ZN9rocsparseL23sddmm_ell_sample_kernelILi16ELi64E21rocsparse_complex_numIdElS2_EEvT2_S3_PKT3_lS3_PS4_PKS3_21rocsparse_index_base_.kd
    .uniform_work_group_size: 1
    .uses_dynamic_stack: false
    .vgpr_count:     12
    .vgpr_spill_count: 0
    .wavefront_size: 32
    .workgroup_processor_mode: 1
  - .args:
      - .offset:         0
        .size:           4
        .value_kind:     by_value
      - .offset:         4
        .size:           4
        .value_kind:     by_value
      - .offset:         8
        .size:           4
        .value_kind:     by_value
      - .offset:         12
        .size:           4
        .value_kind:     by_value
      - .offset:         16
        .size:           8
        .value_kind:     by_value
      - .offset:         24
        .size:           8
        .value_kind:     by_value
      - .offset:         32
        .size:           8
        .value_kind:     by_value
      - .offset:         40
        .size:           8
        .value_kind:     by_value
      - .offset:         48
        .size:           16
        .value_kind:     by_value
      - .actual_access:  read_only
        .address_space:  global
        .offset:         64
        .size:           8
        .value_kind:     global_buffer
      - .offset:         72
        .size:           8
        .value_kind:     by_value
      - .actual_access:  read_only
        .address_space:  global
        .offset:         80
        .size:           8
        .value_kind:     global_buffer
      - .offset:         88
        .size:           8
        .value_kind:     by_value
      - .offset:         96
        .size:           16
        .value_kind:     by_value
      - .address_space:  global
        .offset:         112
        .size:           8
        .value_kind:     global_buffer
      - .actual_access:  read_only
        .address_space:  global
        .offset:         120
        .size:           8
        .value_kind:     global_buffer
      - .offset:         128
        .size:           4
        .value_kind:     by_value
      - .offset:         132
        .size:           1
        .value_kind:     by_value
    .group_segment_fixed_size: 16384
    .kernarg_segment_align: 8
    .kernarg_segment_size: 136
    .language:       OpenCL C
    .language_version:
      - 2
      - 0
    .max_flat_workgroup_size: 512
    .name:           _ZN9rocsparseL16sddmm_ell_kernelILi512ELi8E21rocsparse_complex_numIdEllS2_S2_S2_EEv20rocsparse_operation_S3_16rocsparse_order_S4_T3_S5_S5_T2_NS_24const_host_device_scalarIT1_EEPKT4_lPKT5_lS9_PT6_PKS5_21rocsparse_index_base_b
    .private_segment_fixed_size: 0
    .sgpr_count:     24
    .sgpr_spill_count: 0
    .symbol:         _ZN9rocsparseL16sddmm_ell_kernelILi512ELi8E21rocsparse_complex_numIdEllS2_S2_S2_EEv20rocsparse_operation_S3_16rocsparse_order_S4_T3_S5_S5_T2_NS_24const_host_device_scalarIT1_EEPKT4_lPKT5_lS9_PT6_PKS5_21rocsparse_index_base_b.kd
    .uniform_work_group_size: 1
    .uses_dynamic_stack: false
    .vgpr_count:     33
    .vgpr_spill_count: 0
    .wavefront_size: 32
    .workgroup_processor_mode: 1
  - .args:
      - .offset:         0
        .size:           4
        .value_kind:     by_value
      - .offset:         4
        .size:           4
        .value_kind:     by_value
      - .offset:         8
        .size:           4
        .value_kind:     by_value
      - .offset:         12
        .size:           4
        .value_kind:     by_value
      - .offset:         16
        .size:           8
        .value_kind:     by_value
      - .offset:         24
        .size:           8
        .value_kind:     by_value
      - .offset:         32
        .size:           8
        .value_kind:     by_value
      - .offset:         40
        .size:           8
        .value_kind:     by_value
      - .offset:         48
        .size:           16
        .value_kind:     by_value
      - .actual_access:  read_only
        .address_space:  global
        .offset:         64
        .size:           8
        .value_kind:     global_buffer
      - .offset:         72
        .size:           8
        .value_kind:     by_value
      - .actual_access:  read_only
        .address_space:  global
        .offset:         80
        .size:           8
        .value_kind:     global_buffer
      - .offset:         88
        .size:           8
        .value_kind:     by_value
      - .offset:         96
        .size:           16
        .value_kind:     by_value
      - .address_space:  global
        .offset:         112
        .size:           8
        .value_kind:     global_buffer
      - .actual_access:  read_only
        .address_space:  global
        .offset:         120
        .size:           8
        .value_kind:     global_buffer
      - .offset:         128
        .size:           4
        .value_kind:     by_value
      - .offset:         132
        .size:           1
        .value_kind:     by_value
    .group_segment_fixed_size: 16384
    .kernarg_segment_align: 8
    .kernarg_segment_size: 136
    .language:       OpenCL C
    .language_version:
      - 2
      - 0
    .max_flat_workgroup_size: 512
    .name:           _ZN9rocsparseL16sddmm_ell_kernelILi512ELi4E21rocsparse_complex_numIdEllS2_S2_S2_EEv20rocsparse_operation_S3_16rocsparse_order_S4_T3_S5_S5_T2_NS_24const_host_device_scalarIT1_EEPKT4_lPKT5_lS9_PT6_PKS5_21rocsparse_index_base_b
    .private_segment_fixed_size: 0
    .sgpr_count:     24
    .sgpr_spill_count: 0
    .symbol:         _ZN9rocsparseL16sddmm_ell_kernelILi512ELi4E21rocsparse_complex_numIdEllS2_S2_S2_EEv20rocsparse_operation_S3_16rocsparse_order_S4_T3_S5_S5_T2_NS_24const_host_device_scalarIT1_EEPKT4_lPKT5_lS9_PT6_PKS5_21rocsparse_index_base_b.kd
    .uniform_work_group_size: 1
    .uses_dynamic_stack: false
    .vgpr_count:     33
    .vgpr_spill_count: 0
    .wavefront_size: 32
    .workgroup_processor_mode: 1
  - .args:
      - .offset:         0
        .size:           4
        .value_kind:     by_value
      - .offset:         4
        .size:           4
        .value_kind:     by_value
      - .offset:         8
        .size:           4
        .value_kind:     by_value
      - .offset:         12
        .size:           4
        .value_kind:     by_value
      - .offset:         16
        .size:           8
        .value_kind:     by_value
      - .offset:         24
        .size:           8
        .value_kind:     by_value
      - .offset:         32
        .size:           8
        .value_kind:     by_value
      - .offset:         40
        .size:           8
        .value_kind:     by_value
      - .offset:         48
        .size:           16
        .value_kind:     by_value
      - .actual_access:  read_only
        .address_space:  global
        .offset:         64
        .size:           8
        .value_kind:     global_buffer
      - .offset:         72
        .size:           8
        .value_kind:     by_value
      - .actual_access:  read_only
        .address_space:  global
        .offset:         80
        .size:           8
        .value_kind:     global_buffer
      - .offset:         88
        .size:           8
        .value_kind:     by_value
      - .offset:         96
        .size:           16
        .value_kind:     by_value
      - .address_space:  global
        .offset:         112
        .size:           8
        .value_kind:     global_buffer
      - .actual_access:  read_only
        .address_space:  global
        .offset:         120
        .size:           8
        .value_kind:     global_buffer
      - .offset:         128
        .size:           4
        .value_kind:     by_value
      - .offset:         132
        .size:           1
        .value_kind:     by_value
    .group_segment_fixed_size: 16384
    .kernarg_segment_align: 8
    .kernarg_segment_size: 136
    .language:       OpenCL C
    .language_version:
      - 2
      - 0
    .max_flat_workgroup_size: 512
    .name:           _ZN9rocsparseL16sddmm_ell_kernelILi512ELi2E21rocsparse_complex_numIdEllS2_S2_S2_EEv20rocsparse_operation_S3_16rocsparse_order_S4_T3_S5_S5_T2_NS_24const_host_device_scalarIT1_EEPKT4_lPKT5_lS9_PT6_PKS5_21rocsparse_index_base_b
    .private_segment_fixed_size: 0
    .sgpr_count:     24
    .sgpr_spill_count: 0
    .symbol:         _ZN9rocsparseL16sddmm_ell_kernelILi512ELi2E21rocsparse_complex_numIdEllS2_S2_S2_EEv20rocsparse_operation_S3_16rocsparse_order_S4_T3_S5_S5_T2_NS_24const_host_device_scalarIT1_EEPKT4_lPKT5_lS9_PT6_PKS5_21rocsparse_index_base_b.kd
    .uniform_work_group_size: 1
    .uses_dynamic_stack: false
    .vgpr_count:     33
    .vgpr_spill_count: 0
    .wavefront_size: 32
    .workgroup_processor_mode: 1
  - .args:
      - .offset:         0
        .size:           4
        .value_kind:     by_value
      - .offset:         4
        .size:           4
        .value_kind:     by_value
      - .offset:         8
        .size:           4
        .value_kind:     by_value
      - .offset:         12
        .size:           4
        .value_kind:     by_value
      - .offset:         16
        .size:           8
        .value_kind:     by_value
      - .offset:         24
        .size:           8
        .value_kind:     by_value
      - .offset:         32
        .size:           8
        .value_kind:     by_value
      - .offset:         40
        .size:           8
        .value_kind:     by_value
      - .offset:         48
        .size:           16
        .value_kind:     by_value
      - .actual_access:  read_only
        .address_space:  global
        .offset:         64
        .size:           8
        .value_kind:     global_buffer
      - .offset:         72
        .size:           8
        .value_kind:     by_value
      - .actual_access:  read_only
        .address_space:  global
        .offset:         80
        .size:           8
        .value_kind:     global_buffer
      - .offset:         88
        .size:           8
        .value_kind:     by_value
      - .offset:         96
        .size:           16
        .value_kind:     by_value
      - .address_space:  global
        .offset:         112
        .size:           8
        .value_kind:     global_buffer
      - .actual_access:  read_only
        .address_space:  global
        .offset:         120
        .size:           8
        .value_kind:     global_buffer
      - .offset:         128
        .size:           4
        .value_kind:     by_value
      - .offset:         132
        .size:           1
        .value_kind:     by_value
    .group_segment_fixed_size: 16384
    .kernarg_segment_align: 8
    .kernarg_segment_size: 136
    .language:       OpenCL C
    .language_version:
      - 2
      - 0
    .max_flat_workgroup_size: 512
    .name:           _ZN9rocsparseL16sddmm_ell_kernelILi512ELi1E21rocsparse_complex_numIdEllS2_S2_S2_EEv20rocsparse_operation_S3_16rocsparse_order_S4_T3_S5_S5_T2_NS_24const_host_device_scalarIT1_EEPKT4_lPKT5_lS9_PT6_PKS5_21rocsparse_index_base_b
    .private_segment_fixed_size: 0
    .sgpr_count:     24
    .sgpr_spill_count: 0
    .symbol:         _ZN9rocsparseL16sddmm_ell_kernelILi512ELi1E21rocsparse_complex_numIdEllS2_S2_S2_EEv20rocsparse_operation_S3_16rocsparse_order_S4_T3_S5_S5_T2_NS_24const_host_device_scalarIT1_EEPKT4_lPKT5_lS9_PT6_PKS5_21rocsparse_index_base_b.kd
    .uniform_work_group_size: 1
    .uses_dynamic_stack: false
    .vgpr_count:     29
    .vgpr_spill_count: 0
    .wavefront_size: 32
    .workgroup_processor_mode: 1
  - .args:
      - .offset:         0
        .size:           4
        .value_kind:     by_value
      - .offset:         4
        .size:           4
        .value_kind:     by_value
      - .offset:         8
        .size:           4
        .value_kind:     by_value
      - .offset:         12
        .size:           4
        .value_kind:     by_value
      - .offset:         16
        .size:           4
        .value_kind:     by_value
      - .offset:         20
        .size:           4
        .value_kind:     by_value
      - .offset:         24
        .size:           4
        .value_kind:     by_value
      - .offset:         28
        .size:           4
        .value_kind:     by_value
      - .offset:         32
        .size:           8
        .value_kind:     by_value
      - .actual_access:  read_only
        .address_space:  global
        .offset:         40
        .size:           8
        .value_kind:     global_buffer
      - .offset:         48
        .size:           8
        .value_kind:     by_value
      - .actual_access:  read_only
        .address_space:  global
        .offset:         56
        .size:           8
        .value_kind:     global_buffer
      - .offset:         64
        .size:           8
        .value_kind:     by_value
      - .offset:         72
        .size:           8
        .value_kind:     by_value
      - .address_space:  global
        .offset:         80
        .size:           8
        .value_kind:     global_buffer
      - .actual_access:  read_only
        .address_space:  global
        .offset:         88
        .size:           8
        .value_kind:     global_buffer
      - .offset:         96
        .size:           4
        .value_kind:     by_value
      - .offset:         100
        .size:           1
        .value_kind:     by_value
    .group_segment_fixed_size: 2048
    .kernarg_segment_align: 8
    .kernarg_segment_size: 104
    .language:       OpenCL C
    .language_version:
      - 2
      - 0
    .max_flat_workgroup_size: 512
    .name:           _ZN9rocsparseL16sddmm_ell_kernelILi512ELi8EfiiDF16_DF16_fEEv20rocsparse_operation_S1_16rocsparse_order_S2_T3_S3_S3_T2_NS_24const_host_device_scalarIT1_EEPKT4_lPKT5_lS7_PT6_PKS3_21rocsparse_index_base_b
    .private_segment_fixed_size: 0
    .sgpr_count:     19
    .sgpr_spill_count: 0
    .symbol:         _ZN9rocsparseL16sddmm_ell_kernelILi512ELi8EfiiDF16_DF16_fEEv20rocsparse_operation_S1_16rocsparse_order_S2_T3_S3_S3_T2_NS_24const_host_device_scalarIT1_EEPKT4_lPKT5_lS7_PT6_PKS3_21rocsparse_index_base_b.kd
    .uniform_work_group_size: 1
    .uses_dynamic_stack: false
    .vgpr_count:     16
    .vgpr_spill_count: 0
    .wavefront_size: 32
    .workgroup_processor_mode: 1
  - .args:
      - .offset:         0
        .size:           4
        .value_kind:     by_value
      - .offset:         4
        .size:           4
        .value_kind:     by_value
      - .offset:         8
        .size:           4
        .value_kind:     by_value
      - .offset:         12
        .size:           4
        .value_kind:     by_value
      - .offset:         16
        .size:           4
        .value_kind:     by_value
      - .offset:         20
        .size:           4
        .value_kind:     by_value
      - .offset:         24
        .size:           4
        .value_kind:     by_value
      - .offset:         28
        .size:           4
        .value_kind:     by_value
      - .offset:         32
        .size:           8
        .value_kind:     by_value
      - .actual_access:  read_only
        .address_space:  global
        .offset:         40
        .size:           8
        .value_kind:     global_buffer
      - .offset:         48
        .size:           8
        .value_kind:     by_value
      - .actual_access:  read_only
        .address_space:  global
        .offset:         56
        .size:           8
        .value_kind:     global_buffer
      - .offset:         64
        .size:           8
        .value_kind:     by_value
      - .offset:         72
        .size:           8
        .value_kind:     by_value
      - .address_space:  global
        .offset:         80
        .size:           8
        .value_kind:     global_buffer
      - .actual_access:  read_only
        .address_space:  global
        .offset:         88
        .size:           8
        .value_kind:     global_buffer
      - .offset:         96
        .size:           4
        .value_kind:     by_value
      - .offset:         100
        .size:           1
        .value_kind:     by_value
    .group_segment_fixed_size: 2048
    .kernarg_segment_align: 8
    .kernarg_segment_size: 104
    .language:       OpenCL C
    .language_version:
      - 2
      - 0
    .max_flat_workgroup_size: 512
    .name:           _ZN9rocsparseL16sddmm_ell_kernelILi512ELi4EfiiDF16_DF16_fEEv20rocsparse_operation_S1_16rocsparse_order_S2_T3_S3_S3_T2_NS_24const_host_device_scalarIT1_EEPKT4_lPKT5_lS7_PT6_PKS3_21rocsparse_index_base_b
    .private_segment_fixed_size: 0
    .sgpr_count:     19
    .sgpr_spill_count: 0
    .symbol:         _ZN9rocsparseL16sddmm_ell_kernelILi512ELi4EfiiDF16_DF16_fEEv20rocsparse_operation_S1_16rocsparse_order_S2_T3_S3_S3_T2_NS_24const_host_device_scalarIT1_EEPKT4_lPKT5_lS7_PT6_PKS3_21rocsparse_index_base_b.kd
    .uniform_work_group_size: 1
    .uses_dynamic_stack: false
    .vgpr_count:     16
    .vgpr_spill_count: 0
    .wavefront_size: 32
    .workgroup_processor_mode: 1
  - .args:
      - .offset:         0
        .size:           4
        .value_kind:     by_value
      - .offset:         4
        .size:           4
        .value_kind:     by_value
      - .offset:         8
        .size:           4
        .value_kind:     by_value
      - .offset:         12
        .size:           4
        .value_kind:     by_value
      - .offset:         16
        .size:           4
        .value_kind:     by_value
      - .offset:         20
        .size:           4
        .value_kind:     by_value
      - .offset:         24
        .size:           4
        .value_kind:     by_value
      - .offset:         28
        .size:           4
        .value_kind:     by_value
      - .offset:         32
        .size:           8
        .value_kind:     by_value
      - .actual_access:  read_only
        .address_space:  global
        .offset:         40
        .size:           8
        .value_kind:     global_buffer
      - .offset:         48
        .size:           8
        .value_kind:     by_value
      - .actual_access:  read_only
        .address_space:  global
        .offset:         56
        .size:           8
        .value_kind:     global_buffer
      - .offset:         64
        .size:           8
        .value_kind:     by_value
      - .offset:         72
        .size:           8
        .value_kind:     by_value
      - .address_space:  global
        .offset:         80
        .size:           8
        .value_kind:     global_buffer
      - .actual_access:  read_only
        .address_space:  global
        .offset:         88
        .size:           8
        .value_kind:     global_buffer
      - .offset:         96
        .size:           4
        .value_kind:     by_value
      - .offset:         100
        .size:           1
        .value_kind:     by_value
    .group_segment_fixed_size: 2048
    .kernarg_segment_align: 8
    .kernarg_segment_size: 104
    .language:       OpenCL C
    .language_version:
      - 2
      - 0
    .max_flat_workgroup_size: 512
    .name:           _ZN9rocsparseL16sddmm_ell_kernelILi512ELi2EfiiDF16_DF16_fEEv20rocsparse_operation_S1_16rocsparse_order_S2_T3_S3_S3_T2_NS_24const_host_device_scalarIT1_EEPKT4_lPKT5_lS7_PT6_PKS3_21rocsparse_index_base_b
    .private_segment_fixed_size: 0
    .sgpr_count:     19
    .sgpr_spill_count: 0
    .symbol:         _ZN9rocsparseL16sddmm_ell_kernelILi512ELi2EfiiDF16_DF16_fEEv20rocsparse_operation_S1_16rocsparse_order_S2_T3_S3_S3_T2_NS_24const_host_device_scalarIT1_EEPKT4_lPKT5_lS7_PT6_PKS3_21rocsparse_index_base_b.kd
    .uniform_work_group_size: 1
    .uses_dynamic_stack: false
    .vgpr_count:     13
    .vgpr_spill_count: 0
    .wavefront_size: 32
    .workgroup_processor_mode: 1
  - .args:
      - .offset:         0
        .size:           4
        .value_kind:     by_value
      - .offset:         4
        .size:           4
        .value_kind:     by_value
      - .offset:         8
        .size:           4
        .value_kind:     by_value
      - .offset:         12
        .size:           4
        .value_kind:     by_value
      - .offset:         16
        .size:           4
        .value_kind:     by_value
      - .offset:         20
        .size:           4
        .value_kind:     by_value
      - .offset:         24
        .size:           4
        .value_kind:     by_value
      - .offset:         28
        .size:           4
        .value_kind:     by_value
      - .offset:         32
        .size:           8
        .value_kind:     by_value
      - .actual_access:  read_only
        .address_space:  global
        .offset:         40
        .size:           8
        .value_kind:     global_buffer
      - .offset:         48
        .size:           8
        .value_kind:     by_value
      - .actual_access:  read_only
        .address_space:  global
        .offset:         56
        .size:           8
        .value_kind:     global_buffer
      - .offset:         64
        .size:           8
        .value_kind:     by_value
      - .offset:         72
        .size:           8
        .value_kind:     by_value
      - .address_space:  global
        .offset:         80
        .size:           8
        .value_kind:     global_buffer
      - .actual_access:  read_only
        .address_space:  global
        .offset:         88
        .size:           8
        .value_kind:     global_buffer
      - .offset:         96
        .size:           4
        .value_kind:     by_value
      - .offset:         100
        .size:           1
        .value_kind:     by_value
    .group_segment_fixed_size: 2048
    .kernarg_segment_align: 8
    .kernarg_segment_size: 104
    .language:       OpenCL C
    .language_version:
      - 2
      - 0
    .max_flat_workgroup_size: 512
    .name:           _ZN9rocsparseL16sddmm_ell_kernelILi512ELi1EfiiDF16_DF16_fEEv20rocsparse_operation_S1_16rocsparse_order_S2_T3_S3_S3_T2_NS_24const_host_device_scalarIT1_EEPKT4_lPKT5_lS7_PT6_PKS3_21rocsparse_index_base_b
    .private_segment_fixed_size: 0
    .sgpr_count:     20
    .sgpr_spill_count: 0
    .symbol:         _ZN9rocsparseL16sddmm_ell_kernelILi512ELi1EfiiDF16_DF16_fEEv20rocsparse_operation_S1_16rocsparse_order_S2_T3_S3_S3_T2_NS_24const_host_device_scalarIT1_EEPKT4_lPKT5_lS7_PT6_PKS3_21rocsparse_index_base_b.kd
    .uniform_work_group_size: 1
    .uses_dynamic_stack: false
    .vgpr_count:     11
    .vgpr_spill_count: 0
    .wavefront_size: 32
    .workgroup_processor_mode: 1
  - .args:
      - .offset:         0
        .size:           4
        .value_kind:     by_value
      - .offset:         4
        .size:           4
        .value_kind:     by_value
      - .offset:         8
        .size:           4
        .value_kind:     by_value
      - .offset:         12
        .size:           4
        .value_kind:     by_value
      - .offset:         16
        .size:           8
        .value_kind:     by_value
      - .offset:         24
        .size:           8
        .value_kind:     by_value
      - .offset:         32
        .size:           8
        .value_kind:     by_value
      - .offset:         40
        .size:           8
        .value_kind:     by_value
      - .offset:         48
        .size:           8
        .value_kind:     by_value
      - .actual_access:  read_only
        .address_space:  global
        .offset:         56
        .size:           8
        .value_kind:     global_buffer
      - .offset:         64
        .size:           8
        .value_kind:     by_value
      - .actual_access:  read_only
        .address_space:  global
        .offset:         72
        .size:           8
        .value_kind:     global_buffer
      - .offset:         80
        .size:           8
        .value_kind:     by_value
      - .offset:         88
        .size:           8
        .value_kind:     by_value
      - .address_space:  global
        .offset:         96
        .size:           8
        .value_kind:     global_buffer
      - .actual_access:  read_only
        .address_space:  global
        .offset:         104
        .size:           8
        .value_kind:     global_buffer
      - .offset:         112
        .size:           4
        .value_kind:     by_value
      - .offset:         116
        .size:           1
        .value_kind:     by_value
    .group_segment_fixed_size: 2048
    .kernarg_segment_align: 8
    .kernarg_segment_size: 120
    .language:       OpenCL C
    .language_version:
      - 2
      - 0
    .max_flat_workgroup_size: 512
    .name:           _ZN9rocsparseL16sddmm_ell_kernelILi512ELi8EfllDF16_DF16_fEEv20rocsparse_operation_S1_16rocsparse_order_S2_T3_S3_S3_T2_NS_24const_host_device_scalarIT1_EEPKT4_lPKT5_lS7_PT6_PKS3_21rocsparse_index_base_b
    .private_segment_fixed_size: 0
    .sgpr_count:     24
    .sgpr_spill_count: 0
    .symbol:         _ZN9rocsparseL16sddmm_ell_kernelILi512ELi8EfllDF16_DF16_fEEv20rocsparse_operation_S1_16rocsparse_order_S2_T3_S3_S3_T2_NS_24const_host_device_scalarIT1_EEPKT4_lPKT5_lS7_PT6_PKS3_21rocsparse_index_base_b.kd
    .uniform_work_group_size: 1
    .uses_dynamic_stack: false
    .vgpr_count:     17
    .vgpr_spill_count: 0
    .wavefront_size: 32
    .workgroup_processor_mode: 1
  - .args:
      - .offset:         0
        .size:           4
        .value_kind:     by_value
      - .offset:         4
        .size:           4
        .value_kind:     by_value
      - .offset:         8
        .size:           4
        .value_kind:     by_value
      - .offset:         12
        .size:           4
        .value_kind:     by_value
      - .offset:         16
        .size:           8
        .value_kind:     by_value
      - .offset:         24
        .size:           8
        .value_kind:     by_value
      - .offset:         32
        .size:           8
        .value_kind:     by_value
      - .offset:         40
        .size:           8
        .value_kind:     by_value
      - .offset:         48
        .size:           8
        .value_kind:     by_value
      - .actual_access:  read_only
        .address_space:  global
        .offset:         56
        .size:           8
        .value_kind:     global_buffer
      - .offset:         64
        .size:           8
        .value_kind:     by_value
      - .actual_access:  read_only
        .address_space:  global
        .offset:         72
        .size:           8
        .value_kind:     global_buffer
      - .offset:         80
        .size:           8
        .value_kind:     by_value
      - .offset:         88
        .size:           8
        .value_kind:     by_value
      - .address_space:  global
        .offset:         96
        .size:           8
        .value_kind:     global_buffer
      - .actual_access:  read_only
        .address_space:  global
        .offset:         104
        .size:           8
        .value_kind:     global_buffer
      - .offset:         112
        .size:           4
        .value_kind:     by_value
      - .offset:         116
        .size:           1
        .value_kind:     by_value
    .group_segment_fixed_size: 2048
    .kernarg_segment_align: 8
    .kernarg_segment_size: 120
    .language:       OpenCL C
    .language_version:
      - 2
      - 0
    .max_flat_workgroup_size: 512
    .name:           _ZN9rocsparseL16sddmm_ell_kernelILi512ELi4EfllDF16_DF16_fEEv20rocsparse_operation_S1_16rocsparse_order_S2_T3_S3_S3_T2_NS_24const_host_device_scalarIT1_EEPKT4_lPKT5_lS7_PT6_PKS3_21rocsparse_index_base_b
    .private_segment_fixed_size: 0
    .sgpr_count:     24
    .sgpr_spill_count: 0
    .symbol:         _ZN9rocsparseL16sddmm_ell_kernelILi512ELi4EfllDF16_DF16_fEEv20rocsparse_operation_S1_16rocsparse_order_S2_T3_S3_S3_T2_NS_24const_host_device_scalarIT1_EEPKT4_lPKT5_lS7_PT6_PKS3_21rocsparse_index_base_b.kd
    .uniform_work_group_size: 1
    .uses_dynamic_stack: false
    .vgpr_count:     17
    .vgpr_spill_count: 0
    .wavefront_size: 32
    .workgroup_processor_mode: 1
  - .args:
      - .offset:         0
        .size:           4
        .value_kind:     by_value
      - .offset:         4
        .size:           4
        .value_kind:     by_value
      - .offset:         8
        .size:           4
        .value_kind:     by_value
      - .offset:         12
        .size:           4
        .value_kind:     by_value
      - .offset:         16
        .size:           8
        .value_kind:     by_value
      - .offset:         24
        .size:           8
        .value_kind:     by_value
      - .offset:         32
        .size:           8
        .value_kind:     by_value
      - .offset:         40
        .size:           8
        .value_kind:     by_value
      - .offset:         48
        .size:           8
        .value_kind:     by_value
      - .actual_access:  read_only
        .address_space:  global
        .offset:         56
        .size:           8
        .value_kind:     global_buffer
      - .offset:         64
        .size:           8
        .value_kind:     by_value
      - .actual_access:  read_only
        .address_space:  global
        .offset:         72
        .size:           8
        .value_kind:     global_buffer
      - .offset:         80
        .size:           8
        .value_kind:     by_value
      - .offset:         88
        .size:           8
        .value_kind:     by_value
      - .address_space:  global
        .offset:         96
        .size:           8
        .value_kind:     global_buffer
      - .actual_access:  read_only
        .address_space:  global
        .offset:         104
        .size:           8
        .value_kind:     global_buffer
      - .offset:         112
        .size:           4
        .value_kind:     by_value
      - .offset:         116
        .size:           1
        .value_kind:     by_value
    .group_segment_fixed_size: 2048
    .kernarg_segment_align: 8
    .kernarg_segment_size: 120
    .language:       OpenCL C
    .language_version:
      - 2
      - 0
    .max_flat_workgroup_size: 512
    .name:           _ZN9rocsparseL16sddmm_ell_kernelILi512ELi2EfllDF16_DF16_fEEv20rocsparse_operation_S1_16rocsparse_order_S2_T3_S3_S3_T2_NS_24const_host_device_scalarIT1_EEPKT4_lPKT5_lS7_PT6_PKS3_21rocsparse_index_base_b
    .private_segment_fixed_size: 0
    .sgpr_count:     24
    .sgpr_spill_count: 0
    .symbol:         _ZN9rocsparseL16sddmm_ell_kernelILi512ELi2EfllDF16_DF16_fEEv20rocsparse_operation_S1_16rocsparse_order_S2_T3_S3_S3_T2_NS_24const_host_device_scalarIT1_EEPKT4_lPKT5_lS7_PT6_PKS3_21rocsparse_index_base_b.kd
    .uniform_work_group_size: 1
    .uses_dynamic_stack: false
    .vgpr_count:     16
    .vgpr_spill_count: 0
    .wavefront_size: 32
    .workgroup_processor_mode: 1
  - .args:
      - .offset:         0
        .size:           4
        .value_kind:     by_value
      - .offset:         4
        .size:           4
        .value_kind:     by_value
      - .offset:         8
        .size:           4
        .value_kind:     by_value
      - .offset:         12
        .size:           4
        .value_kind:     by_value
      - .offset:         16
        .size:           8
        .value_kind:     by_value
      - .offset:         24
        .size:           8
        .value_kind:     by_value
      - .offset:         32
        .size:           8
        .value_kind:     by_value
      - .offset:         40
        .size:           8
        .value_kind:     by_value
      - .offset:         48
        .size:           8
        .value_kind:     by_value
      - .actual_access:  read_only
        .address_space:  global
        .offset:         56
        .size:           8
        .value_kind:     global_buffer
      - .offset:         64
        .size:           8
        .value_kind:     by_value
      - .actual_access:  read_only
        .address_space:  global
        .offset:         72
        .size:           8
        .value_kind:     global_buffer
      - .offset:         80
        .size:           8
        .value_kind:     by_value
      - .offset:         88
        .size:           8
        .value_kind:     by_value
      - .address_space:  global
        .offset:         96
        .size:           8
        .value_kind:     global_buffer
      - .actual_access:  read_only
        .address_space:  global
        .offset:         104
        .size:           8
        .value_kind:     global_buffer
      - .offset:         112
        .size:           4
        .value_kind:     by_value
      - .offset:         116
        .size:           1
        .value_kind:     by_value
    .group_segment_fixed_size: 2048
    .kernarg_segment_align: 8
    .kernarg_segment_size: 120
    .language:       OpenCL C
    .language_version:
      - 2
      - 0
    .max_flat_workgroup_size: 512
    .name:           _ZN9rocsparseL16sddmm_ell_kernelILi512ELi1EfllDF16_DF16_fEEv20rocsparse_operation_S1_16rocsparse_order_S2_T3_S3_S3_T2_NS_24const_host_device_scalarIT1_EEPKT4_lPKT5_lS7_PT6_PKS3_21rocsparse_index_base_b
    .private_segment_fixed_size: 0
    .sgpr_count:     24
    .sgpr_spill_count: 0
    .symbol:         _ZN9rocsparseL16sddmm_ell_kernelILi512ELi1EfllDF16_DF16_fEEv20rocsparse_operation_S1_16rocsparse_order_S2_T3_S3_S3_T2_NS_24const_host_device_scalarIT1_EEPKT4_lPKT5_lS7_PT6_PKS3_21rocsparse_index_base_b.kd
    .uniform_work_group_size: 1
    .uses_dynamic_stack: false
    .vgpr_count:     12
    .vgpr_spill_count: 0
    .wavefront_size: 32
    .workgroup_processor_mode: 1
amdhsa.target:   amdgcn-amd-amdhsa--gfx1100
amdhsa.version:
  - 1
  - 2
...

	.end_amdgpu_metadata
